;; amdgpu-corpus repo=ROCm/rocBLAS kind=compiled arch=gfx1250 opt=O3
	.amdgcn_target "amdgcn-amd-amdhsa--gfx1250"
	.amdhsa_code_object_version 6
	.section	.text._ZL20rocblas_gbmvn_kernelILi32ELi32E24rocblas_internal_val_ptrIdEPKPKdPKPdEvbiiiiT1_T2_lllSA_lllS9_T3_llli,"axG",@progbits,_ZL20rocblas_gbmvn_kernelILi32ELi32E24rocblas_internal_val_ptrIdEPKPKdPKPdEvbiiiiT1_T2_lllSA_lllS9_T3_llli,comdat
	.globl	_ZL20rocblas_gbmvn_kernelILi32ELi32E24rocblas_internal_val_ptrIdEPKPKdPKPdEvbiiiiT1_T2_lllSA_lllS9_T3_llli ; -- Begin function _ZL20rocblas_gbmvn_kernelILi32ELi32E24rocblas_internal_val_ptrIdEPKPKdPKPdEvbiiiiT1_T2_lllSA_lllS9_T3_llli
	.p2align	8
	.type	_ZL20rocblas_gbmvn_kernelILi32ELi32E24rocblas_internal_val_ptrIdEPKPKdPKPdEvbiiiiT1_T2_lllSA_lllS9_T3_llli,@function
_ZL20rocblas_gbmvn_kernelILi32ELi32E24rocblas_internal_val_ptrIdEPKPKdPKPdEvbiiiiT1_T2_lllSA_lllS9_T3_llli: ; @_ZL20rocblas_gbmvn_kernelILi32ELi32E24rocblas_internal_val_ptrIdEPKPKdPKPdEvbiiiiT1_T2_lllSA_lllS9_T3_llli
; %bb.0:
	s_load_b256 s[4:11], s[2:3], 0x18
	s_load_b64 s[20:21], s[0:1], 0x4
	s_load_b256 s[12:19], s[2:3], 0x60
	v_bfe_u32 v1, v0, 10, 10
	s_load_b32 s28, s[2:3], 0x88
	v_and_b32_e32 v6, 0x3ff, v0
	s_wait_xcnt 0x0
	s_lshr_b32 s1, ttmp7, 16
	v_bfe_u32 v0, v0, 20, 10
	s_wait_kmcnt 0x0
	v_dual_mov_b32 v2, s4 :: v_dual_mov_b32 v3, s5
	v_mul_u32_u24_e32 v5, s21, v1
	s_lshr_b32 s0, s20, 16
	s_bfe_u32 s5, ttmp6, 0x40008
	s_mul_i32 s0, s0, s21
	v_mov_b32_e32 v4, s12
	v_mad_u32 v7, s0, v6, v5
	s_bfe_u32 s0, ttmp6, 0x40014
	v_mov_b32_e32 v5, s13
	s_add_co_i32 s0, s0, 1
	s_delay_alu instid0(SALU_CYCLE_1) | instskip(SKIP_4) | instid1(VALU_DEP_2)
	s_mul_i32 s4, s1, s0
	s_getreg_b32 s0, hwreg(HW_REG_IB_STS2, 6, 4)
	s_add_co_i32 s5, s5, s4
	s_cmp_eq_u32 s0, 0
	s_cselect_b32 s4, s1, s5
	v_add_lshl_u32 v22, v7, v0, 3
	s_cmp_ge_u32 s4, s28
	s_mov_b32 s5, 0
	ds_store_2addr_stride64_b64 v22, v[4:5], v[2:3] offset1:16
	s_cbranch_scc1 .LBB0_31
; %bb.1:
	s_clause 0x3
	s_load_b128 s[20:23], s[2:3], 0x0
	s_load_b32 s1, s[2:3], 0x10
	s_load_b64 s[30:31], s[2:3], 0x50
	s_load_b128 s[24:27], s[2:3], 0x40
	v_mbcnt_lo_u32_b32 v23, -1, 0
	v_mov_b32_e32 v5, 0
	s_delay_alu instid0(VALU_DEP_2)
	v_lshl_or_b32 v24, v23, 2, 64
	s_wait_kmcnt 0x0
	s_bitcmp1_b32 s20, 0
	s_cselect_b32 s12, -1, 0
	s_bfe_u32 s13, ttmp6, 0x4000c
	s_and_b32 s20, ttmp6, 15
	s_add_co_i32 s13, s13, 1
	s_xor_b32 s29, s12, -1
	s_mul_i32 s13, ttmp9, s13
	s_delay_alu instid0(SALU_CYCLE_1)
	s_add_co_i32 s20, s20, s13
	s_cmp_eq_u32 s0, 0
	s_mov_b64 s[12:13], 0xffffffffffffffe0
	s_cselect_b32 s0, ttmp9, s20
	s_lshl_b64 s[8:9], s[8:9], 3
	v_lshl_add_u32 v8, s0, 5, v1
	v_cmp_eq_u32_e64 s0, 0, v6
	s_delay_alu instid0(VALU_DEP_2) | instskip(SKIP_1) | instid1(VALU_DEP_2)
	v_subrev_nc_u32_e32 v0, s23, v8
	v_dual_ashrrev_i32 v9, 31, v8 :: v_dual_min_i32 v4, s23, v8
	v_max_i32_e32 v0, 0, v0
	s_delay_alu instid0(VALU_DEP_2) | instskip(SKIP_1) | instid1(VALU_DEP_2)
	v_mul_u64_e32 v[2:3], s[18:19], v[8:9]
	s_lshl_b64 s[18:19], s[10:11], 8
	v_add_nc_u32_e32 v0, v0, v6
	s_delay_alu instid0(VALU_DEP_1) | instskip(NEXT) | instid1(VALU_DEP_1)
	v_ashrrev_i32_e32 v1, 31, v0
	v_mul_u64_e32 v[10:11], s[30:31], v[0:1]
	v_mul_u64_e32 v[12:13], s[10:11], v[0:1]
	v_sub_nc_u32_e32 v1, s1, v6
	v_cmp_gt_i32_e64 s1, s21, v8
	s_mov_b64 s[20:21], 0xffffffffffffff00
	s_lshl_b64 s[10:11], s[30:31], 8
	s_add_nc_u64 s[18:19], s[18:19], s[20:21]
	v_add_nc_u32_e32 v4, v1, v4
	v_add_nc_u32_e32 v1, 0x2000, v22
	s_delay_alu instid0(VALU_DEP_2) | instskip(SKIP_2) | instid1(VALU_DEP_3)
	v_lshlrev_b64_e32 v[14:15], 3, v[4:5]
	v_cmp_lt_i32_e64 s2, -1, v4
	v_lshlrev_b64_e32 v[6:7], 3, v[10:11]
	v_lshl_add_u64 v[8:9], v[12:13], 3, v[14:15]
	s_branch .LBB0_4
.LBB0_2:                                ;   in Loop: Header=BB0_4 Depth=1
	s_wait_xcnt 0x0
	s_or_b32 exec_lo, exec_lo, s3
	flat_store_b64 v[10:11], v[16:17]
.LBB0_3:                                ;   in Loop: Header=BB0_4 Depth=1
	s_wait_xcnt 0x0
	s_or_b32 exec_lo, exec_lo, s23
	s_add_co_i32 s4, s4, 0x10000
	s_delay_alu instid0(SALU_CYCLE_1)
	s_cmp_lt_u32 s4, s28
	s_cbranch_scc0 .LBB0_31
.LBB0_4:                                ; =>This Loop Header: Depth=1
                                        ;     Child Loop BB0_24 Depth 2
	s_and_b32 vcc_lo, exec_lo, s29
	s_mov_b32 s3, -1
                                        ; implicit-def: $vgpr10_vgpr11
	s_cbranch_vccnz .LBB0_15
; %bb.5:                                ;   in Loop: Header=BB0_4 Depth=1
	s_and_not1_b32 vcc_lo, exec_lo, s3
	s_cbranch_vccz .LBB0_16
.LBB0_6:                                ;   in Loop: Header=BB0_4 Depth=1
	s_and_b32 vcc_lo, exec_lo, s29
	s_mov_b32 s3, -1
                                        ; implicit-def: $vgpr12_vgpr13
	s_cbranch_vccnz .LBB0_17
.LBB0_7:                                ;   in Loop: Header=BB0_4 Depth=1
	s_and_not1_b32 vcc_lo, exec_lo, s3
	s_cbranch_vccnz .LBB0_9
.LBB0_8:                                ;   in Loop: Header=BB0_4 Depth=1
	s_wait_loadcnt_dscnt 0x0
	s_wait_xcnt 0x0
	ds_load_b64 v[12:13], v22
.LBB0_9:                                ;   in Loop: Header=BB0_4 Depth=1
	s_wait_loadcnt_dscnt 0x0
	v_cmp_neq_f64_e32 vcc_lo, 0, v[10:11]
	v_cmp_neq_f64_e64 s3, 1.0, v[12:13]
	s_or_b32 s3, vcc_lo, s3
	s_wait_xcnt 0x0
	s_and_saveexec_b32 s23, s3
	s_cbranch_execz .LBB0_3
; %bb.10:                               ;   in Loop: Header=BB0_4 Depth=1
	v_cmp_eq_f64_e64 s3, 0, v[10:11]
	v_mov_b64_e32 v[14:15], s[4:5]
	v_cmp_neq_f64_e32 vcc_lo, 0, v[10:11]
	s_and_saveexec_b32 s20, s3
	s_delay_alu instid0(SALU_CYCLE_1)
	s_xor_b32 s3, exec_lo, s20
; %bb.11:                               ;   in Loop: Header=BB0_4 Depth=1
	v_mov_b64_e32 v[14:15], s[4:5]
; %bb.12:                               ;   in Loop: Header=BB0_4 Depth=1
	s_or_saveexec_b32 s3, s3
	v_mov_b64_e32 v[18:19], 0
	v_mov_b64_e32 v[20:21], 0
	s_xor_b32 exec_lo, exec_lo, s3
	s_cbranch_execnz .LBB0_18
; %bb.13:                               ;   in Loop: Header=BB0_4 Depth=1
	s_or_b32 exec_lo, exec_lo, s3
	s_and_saveexec_b32 s3, vcc_lo
	s_cbranch_execnz .LBB0_19
.LBB0_14:                               ;   in Loop: Header=BB0_4 Depth=1
	s_or_b32 exec_lo, exec_lo, s3
	s_delay_alu instid0(SALU_CYCLE_1)
	s_and_b32 exec_lo, exec_lo, s1
	s_cbranch_execz .LBB0_3
	s_branch .LBB0_20
.LBB0_15:                               ;   in Loop: Header=BB0_4 Depth=1
	ds_load_b64 v[10:11], v1
	s_wait_dscnt 0x0
	flat_load_b64 v[10:11], v[10:11]
	s_cbranch_execnz .LBB0_6
.LBB0_16:                               ;   in Loop: Header=BB0_4 Depth=1
	s_wait_loadcnt_dscnt 0x0
	s_wait_xcnt 0x0
	ds_load_b64 v[10:11], v1
	s_and_b32 vcc_lo, exec_lo, s29
	s_mov_b32 s3, -1
                                        ; implicit-def: $vgpr12_vgpr13
	s_cbranch_vccz .LBB0_7
.LBB0_17:                               ;   in Loop: Header=BB0_4 Depth=1
	ds_load_b64 v[12:13], v22
	s_wait_dscnt 0x0
	flat_load_b64 v[12:13], v[12:13]
	s_cbranch_execz .LBB0_8
	s_branch .LBB0_9
.LBB0_18:                               ;   in Loop: Header=BB0_4 Depth=1
	s_lshl_b64 s[20:21], s[4:5], 3
	s_delay_alu instid0(SALU_CYCLE_1)
	s_add_nc_u64 s[20:21], s[6:7], s[20:21]
	global_load_b64 v[16:17], v5, s[20:21]
	s_wait_loadcnt 0x0
	v_add_nc_u64_e32 v[20:21], s[8:9], v[16:17]
	s_wait_xcnt 0x0
	s_or_b32 exec_lo, exec_lo, s3
	s_and_saveexec_b32 s3, vcc_lo
	s_cbranch_execz .LBB0_14
.LBB0_19:                               ;   in Loop: Header=BB0_4 Depth=1
	v_lshl_add_u64 v[16:17], v[14:15], 3, s[24:25]
	global_load_b64 v[16:17], v[16:17], off
	s_wait_loadcnt 0x0
	v_lshl_add_u64 v[18:19], s[26:27], 3, v[16:17]
	s_wait_xcnt 0x0
	s_or_b32 exec_lo, exec_lo, s3
	s_delay_alu instid0(SALU_CYCLE_1)
	s_and_b32 exec_lo, exec_lo, s1
	s_cbranch_execz .LBB0_3
.LBB0_20:                               ;   in Loop: Header=BB0_4 Depth=1
	v_lshl_add_u64 v[14:15], v[14:15], 3, s[14:15]
	v_mov_b64_e32 v[16:17], 0
	global_load_b64 v[14:15], v[14:15], off
	s_wait_xcnt 0x0
	s_and_saveexec_b32 s3, vcc_lo
	s_cbranch_execz .LBB0_28
; %bb.21:                               ;   in Loop: Header=BB0_4 Depth=1
	v_mov_b64_e32 v[16:17], 0
	s_and_saveexec_b32 s30, s2
	s_cbranch_execz .LBB0_27
; %bb.22:                               ;   in Loop: Header=BB0_4 Depth=1
	v_add_nc_u64_e32 v[18:19], v[18:19], v[6:7]
	v_add_nc_u64_e32 v[20:21], v[20:21], v[8:9]
	v_mov_b64_e32 v[16:17], 0
	v_mov_b32_e32 v25, v0
	s_mov_b64 s[20:21], 0
	s_mov_b32 s31, 0
	s_branch .LBB0_24
.LBB0_23:                               ;   in Loop: Header=BB0_24 Depth=2
	s_wait_xcnt 0x0
	s_or_b32 exec_lo, exec_lo, s33
	s_add_nc_u64 s[20:21], s[20:21], s[12:13]
	v_add_nc_u64_e32 v[18:19], s[10:11], v[18:19]
	v_add3_u32 v26, v4, s20, 32
	v_add_nc_u64_e32 v[20:21], s[18:19], v[20:21]
	v_add_nc_u32_e32 v25, 32, v25
	s_delay_alu instid0(VALU_DEP_3) | instskip(SKIP_1) | instid1(SALU_CYCLE_1)
	v_cmp_gt_u32_e32 vcc_lo, 32, v26
	s_or_b32 s31, vcc_lo, s31
	s_and_not1_b32 exec_lo, exec_lo, s31
	s_cbranch_execz .LBB0_26
.LBB0_24:                               ;   Parent Loop BB0_4 Depth=1
                                        ; =>  This Inner Loop Header: Depth=2
	s_mov_b32 s33, exec_lo
	v_cmpx_gt_i32_e64 s22, v25
	s_cbranch_execz .LBB0_23
; %bb.25:                               ;   in Loop: Header=BB0_24 Depth=2
	flat_load_b64 v[26:27], v[20:21]
	flat_load_b64 v[28:29], v[18:19]
	s_wait_loadcnt_dscnt 0x0
	v_fmac_f64_e32 v[16:17], v[26:27], v[28:29]
	s_branch .LBB0_23
.LBB0_26:                               ;   in Loop: Header=BB0_4 Depth=1
	s_or_b32 exec_lo, exec_lo, s31
.LBB0_27:                               ;   in Loop: Header=BB0_4 Depth=1
	s_delay_alu instid0(SALU_CYCLE_1)
	s_or_b32 exec_lo, exec_lo, s30
	ds_bpermute_b32 v18, v24, v16
	ds_bpermute_b32 v19, v24, v17
	v_cmp_gt_u32_e32 vcc_lo, 24, v23
	s_wait_loadcnt_dscnt 0x0
	s_barrier_signal -1
	s_barrier_wait -1
	v_add_f64_e32 v[16:17], v[16:17], v[18:19]
	v_cndmask_b32_e64 v18, 0, 8, vcc_lo
	v_cmp_gt_u32_e32 vcc_lo, 28, v23
	s_delay_alu instid0(VALU_DEP_2)
	v_add_lshl_u32 v19, v18, v23, 2
	ds_bpermute_b32 v18, v19, v16
	ds_bpermute_b32 v19, v19, v17
	s_wait_dscnt 0x0
	v_add_f64_e32 v[16:17], v[16:17], v[18:19]
	v_cndmask_b32_e64 v18, 0, 4, vcc_lo
	v_cmp_gt_u32_e32 vcc_lo, 30, v23
	s_delay_alu instid0(VALU_DEP_2)
	v_add_lshl_u32 v19, v18, v23, 2
	ds_bpermute_b32 v18, v19, v16
	ds_bpermute_b32 v19, v19, v17
	s_wait_dscnt 0x0
	v_add_f64_e32 v[16:17], v[16:17], v[18:19]
	v_cndmask_b32_e64 v18, 0, 2, vcc_lo
	v_cmp_ne_u32_e32 vcc_lo, 31, v23
	s_delay_alu instid0(VALU_DEP_2)
	v_add_lshl_u32 v19, v18, v23, 2
	ds_bpermute_b32 v18, v19, v16
	ds_bpermute_b32 v19, v19, v17
	s_wait_dscnt 0x0
	v_add_f64_e32 v[16:17], v[16:17], v[18:19]
	v_add_co_ci_u32_e64 v18, null, 0, v23, vcc_lo
	s_delay_alu instid0(VALU_DEP_1) | instskip(SKIP_4) | instid1(VALU_DEP_1)
	v_lshlrev_b32_e32 v19, 2, v18
	ds_bpermute_b32 v18, v19, v16
	ds_bpermute_b32 v19, v19, v17
	s_wait_dscnt 0x0
	v_add_f64_e32 v[16:17], v[16:17], v[18:19]
	v_mul_f64_e32 v[16:17], v[10:11], v[16:17]
.LBB0_28:                               ;   in Loop: Header=BB0_4 Depth=1
	s_or_b32 exec_lo, exec_lo, s3
	s_delay_alu instid0(SALU_CYCLE_1)
	s_and_b32 exec_lo, exec_lo, s0
	s_cbranch_execz .LBB0_3
; %bb.29:                               ;   in Loop: Header=BB0_4 Depth=1
	s_wait_loadcnt 0x0
	v_lshl_add_u64 v[10:11], s[16:17], 3, v[14:15]
	s_mov_b32 s3, exec_lo
	s_delay_alu instid0(VALU_DEP_1)
	v_lshl_add_u64 v[10:11], v[2:3], 3, v[10:11]
	v_cmpx_neq_f64_e32 0, v[12:13]
	s_cbranch_execz .LBB0_2
; %bb.30:                               ;   in Loop: Header=BB0_4 Depth=1
	flat_load_b64 v[14:15], v[10:11]
	s_wait_loadcnt_dscnt 0x0
	v_fmac_f64_e32 v[16:17], v[12:13], v[14:15]
	s_branch .LBB0_2
.LBB0_31:
	s_endpgm
	.section	.rodata,"a",@progbits
	.p2align	6, 0x0
	.amdhsa_kernel _ZL20rocblas_gbmvn_kernelILi32ELi32E24rocblas_internal_val_ptrIdEPKPKdPKPdEvbiiiiT1_T2_lllSA_lllS9_T3_llli
		.amdhsa_group_segment_fixed_size 16384
		.amdhsa_private_segment_fixed_size 0
		.amdhsa_kernarg_size 140
		.amdhsa_user_sgpr_count 4
		.amdhsa_user_sgpr_dispatch_ptr 1
		.amdhsa_user_sgpr_queue_ptr 0
		.amdhsa_user_sgpr_kernarg_segment_ptr 1
		.amdhsa_user_sgpr_dispatch_id 0
		.amdhsa_user_sgpr_kernarg_preload_length 0
		.amdhsa_user_sgpr_kernarg_preload_offset 0
		.amdhsa_user_sgpr_private_segment_size 0
		.amdhsa_wavefront_size32 1
		.amdhsa_uses_dynamic_stack 0
		.amdhsa_enable_private_segment 0
		.amdhsa_system_sgpr_workgroup_id_x 1
		.amdhsa_system_sgpr_workgroup_id_y 0
		.amdhsa_system_sgpr_workgroup_id_z 1
		.amdhsa_system_sgpr_workgroup_info 0
		.amdhsa_system_vgpr_workitem_id 2
		.amdhsa_next_free_vgpr 30
		.amdhsa_next_free_sgpr 34
		.amdhsa_named_barrier_count 0
		.amdhsa_reserve_vcc 1
		.amdhsa_float_round_mode_32 0
		.amdhsa_float_round_mode_16_64 0
		.amdhsa_float_denorm_mode_32 3
		.amdhsa_float_denorm_mode_16_64 3
		.amdhsa_fp16_overflow 0
		.amdhsa_memory_ordered 1
		.amdhsa_forward_progress 1
		.amdhsa_inst_pref_size 11
		.amdhsa_round_robin_scheduling 0
		.amdhsa_exception_fp_ieee_invalid_op 0
		.amdhsa_exception_fp_denorm_src 0
		.amdhsa_exception_fp_ieee_div_zero 0
		.amdhsa_exception_fp_ieee_overflow 0
		.amdhsa_exception_fp_ieee_underflow 0
		.amdhsa_exception_fp_ieee_inexact 0
		.amdhsa_exception_int_div_zero 0
	.end_amdhsa_kernel
	.section	.text._ZL20rocblas_gbmvn_kernelILi32ELi32E24rocblas_internal_val_ptrIdEPKPKdPKPdEvbiiiiT1_T2_lllSA_lllS9_T3_llli,"axG",@progbits,_ZL20rocblas_gbmvn_kernelILi32ELi32E24rocblas_internal_val_ptrIdEPKPKdPKPdEvbiiiiT1_T2_lllSA_lllS9_T3_llli,comdat
.Lfunc_end0:
	.size	_ZL20rocblas_gbmvn_kernelILi32ELi32E24rocblas_internal_val_ptrIdEPKPKdPKPdEvbiiiiT1_T2_lllSA_lllS9_T3_llli, .Lfunc_end0-_ZL20rocblas_gbmvn_kernelILi32ELi32E24rocblas_internal_val_ptrIdEPKPKdPKPdEvbiiiiT1_T2_lllSA_lllS9_T3_llli
                                        ; -- End function
	.set _ZL20rocblas_gbmvn_kernelILi32ELi32E24rocblas_internal_val_ptrIdEPKPKdPKPdEvbiiiiT1_T2_lllSA_lllS9_T3_llli.num_vgpr, 30
	.set _ZL20rocblas_gbmvn_kernelILi32ELi32E24rocblas_internal_val_ptrIdEPKPKdPKPdEvbiiiiT1_T2_lllSA_lllS9_T3_llli.num_agpr, 0
	.set _ZL20rocblas_gbmvn_kernelILi32ELi32E24rocblas_internal_val_ptrIdEPKPKdPKPdEvbiiiiT1_T2_lllSA_lllS9_T3_llli.numbered_sgpr, 34
	.set _ZL20rocblas_gbmvn_kernelILi32ELi32E24rocblas_internal_val_ptrIdEPKPKdPKPdEvbiiiiT1_T2_lllSA_lllS9_T3_llli.num_named_barrier, 0
	.set _ZL20rocblas_gbmvn_kernelILi32ELi32E24rocblas_internal_val_ptrIdEPKPKdPKPdEvbiiiiT1_T2_lllSA_lllS9_T3_llli.private_seg_size, 0
	.set _ZL20rocblas_gbmvn_kernelILi32ELi32E24rocblas_internal_val_ptrIdEPKPKdPKPdEvbiiiiT1_T2_lllSA_lllS9_T3_llli.uses_vcc, 1
	.set _ZL20rocblas_gbmvn_kernelILi32ELi32E24rocblas_internal_val_ptrIdEPKPKdPKPdEvbiiiiT1_T2_lllSA_lllS9_T3_llli.uses_flat_scratch, 0
	.set _ZL20rocblas_gbmvn_kernelILi32ELi32E24rocblas_internal_val_ptrIdEPKPKdPKPdEvbiiiiT1_T2_lllSA_lllS9_T3_llli.has_dyn_sized_stack, 0
	.set _ZL20rocblas_gbmvn_kernelILi32ELi32E24rocblas_internal_val_ptrIdEPKPKdPKPdEvbiiiiT1_T2_lllSA_lllS9_T3_llli.has_recursion, 0
	.set _ZL20rocblas_gbmvn_kernelILi32ELi32E24rocblas_internal_val_ptrIdEPKPKdPKPdEvbiiiiT1_T2_lllSA_lllS9_T3_llli.has_indirect_call, 0
	.section	.AMDGPU.csdata,"",@progbits
; Kernel info:
; codeLenInByte = 1348
; TotalNumSgprs: 36
; NumVgprs: 30
; ScratchSize: 0
; MemoryBound: 1
; FloatMode: 240
; IeeeMode: 1
; LDSByteSize: 16384 bytes/workgroup (compile time only)
; SGPRBlocks: 0
; VGPRBlocks: 1
; NumSGPRsForWavesPerEU: 36
; NumVGPRsForWavesPerEU: 30
; NamedBarCnt: 0
; Occupancy: 16
; WaveLimiterHint : 1
; COMPUTE_PGM_RSRC2:SCRATCH_EN: 0
; COMPUTE_PGM_RSRC2:USER_SGPR: 4
; COMPUTE_PGM_RSRC2:TRAP_HANDLER: 0
; COMPUTE_PGM_RSRC2:TGID_X_EN: 1
; COMPUTE_PGM_RSRC2:TGID_Y_EN: 0
; COMPUTE_PGM_RSRC2:TGID_Z_EN: 1
; COMPUTE_PGM_RSRC2:TIDIG_COMP_CNT: 2
	.section	.text._ZL20rocblas_gbmvn_kernelILi64ELi16E24rocblas_internal_val_ptrIdEPKPKdPKPdEvbiiiiT1_T2_lllSA_lllS9_T3_llli,"axG",@progbits,_ZL20rocblas_gbmvn_kernelILi64ELi16E24rocblas_internal_val_ptrIdEPKPKdPKPdEvbiiiiT1_T2_lllSA_lllS9_T3_llli,comdat
	.globl	_ZL20rocblas_gbmvn_kernelILi64ELi16E24rocblas_internal_val_ptrIdEPKPKdPKPdEvbiiiiT1_T2_lllSA_lllS9_T3_llli ; -- Begin function _ZL20rocblas_gbmvn_kernelILi64ELi16E24rocblas_internal_val_ptrIdEPKPKdPKPdEvbiiiiT1_T2_lllSA_lllS9_T3_llli
	.p2align	8
	.type	_ZL20rocblas_gbmvn_kernelILi64ELi16E24rocblas_internal_val_ptrIdEPKPKdPKPdEvbiiiiT1_T2_lllSA_lllS9_T3_llli,@function
_ZL20rocblas_gbmvn_kernelILi64ELi16E24rocblas_internal_val_ptrIdEPKPKdPKPdEvbiiiiT1_T2_lllSA_lllS9_T3_llli: ; @_ZL20rocblas_gbmvn_kernelILi64ELi16E24rocblas_internal_val_ptrIdEPKPKdPKPdEvbiiiiT1_T2_lllSA_lllS9_T3_llli
; %bb.0:
	s_load_b256 s[4:11], s[2:3], 0x18
	s_load_b64 s[20:21], s[0:1], 0x4
	s_load_b256 s[12:19], s[2:3], 0x60
	v_bfe_u32 v1, v0, 10, 10
	s_load_b32 s28, s[2:3], 0x88
	v_and_b32_e32 v6, 0x3ff, v0
	s_wait_xcnt 0x0
	s_lshr_b32 s1, ttmp7, 16
	v_bfe_u32 v0, v0, 20, 10
	s_wait_kmcnt 0x0
	v_dual_mov_b32 v2, s4 :: v_dual_mov_b32 v3, s5
	v_mul_u32_u24_e32 v5, s21, v1
	s_lshr_b32 s0, s20, 16
	s_bfe_u32 s5, ttmp6, 0x40008
	s_mul_i32 s0, s0, s21
	v_mov_b32_e32 v4, s12
	v_mad_u32 v7, s0, v6, v5
	s_bfe_u32 s0, ttmp6, 0x40014
	v_mov_b32_e32 v5, s13
	s_add_co_i32 s0, s0, 1
	s_delay_alu instid0(SALU_CYCLE_1) | instskip(SKIP_4) | instid1(VALU_DEP_2)
	s_mul_i32 s4, s1, s0
	s_getreg_b32 s0, hwreg(HW_REG_IB_STS2, 6, 4)
	s_add_co_i32 s5, s5, s4
	s_cmp_eq_u32 s0, 0
	s_cselect_b32 s4, s1, s5
	v_add_lshl_u32 v22, v7, v0, 3
	s_cmp_ge_u32 s4, s28
	s_mov_b32 s5, 0
	ds_store_2addr_stride64_b64 v22, v[4:5], v[2:3] offset1:16
	s_cbranch_scc1 .LBB1_31
; %bb.1:
	s_clause 0x3
	s_load_b128 s[20:23], s[2:3], 0x0
	s_load_b32 s1, s[2:3], 0x10
	s_load_b64 s[30:31], s[2:3], 0x50
	s_load_b128 s[24:27], s[2:3], 0x40
	v_mbcnt_lo_u32_b32 v23, -1, 0
	s_delay_alu instid0(VALU_DEP_1) | instskip(NEXT) | instid1(VALU_DEP_1)
	v_dual_mov_b32 v5, 0 :: v_dual_lshlrev_b32 v24, 2, v23
	v_or_b32_e32 v25, 64, v24
	s_wait_kmcnt 0x0
	s_bitcmp1_b32 s20, 0
	s_cselect_b32 s12, -1, 0
	s_bfe_u32 s13, ttmp6, 0x4000c
	s_and_b32 s20, ttmp6, 15
	s_add_co_i32 s13, s13, 1
	s_xor_b32 s29, s12, -1
	s_mul_i32 s13, ttmp9, s13
	s_delay_alu instid0(SALU_CYCLE_1)
	s_add_co_i32 s20, s20, s13
	s_cmp_eq_u32 s0, 0
	s_mov_b64 s[12:13], 0xffffffffffffffc0
	s_cselect_b32 s0, ttmp9, s20
	s_lshl_b64 s[8:9], s[8:9], 3
	v_lshl_add_u32 v8, s0, 4, v1
	v_cmp_eq_u32_e64 s0, 0, v6
	s_delay_alu instid0(VALU_DEP_2) | instskip(SKIP_1) | instid1(VALU_DEP_2)
	v_subrev_nc_u32_e32 v0, s23, v8
	v_dual_ashrrev_i32 v9, 31, v8 :: v_dual_min_i32 v4, s23, v8
	v_max_i32_e32 v0, 0, v0
	s_delay_alu instid0(VALU_DEP_2) | instskip(SKIP_1) | instid1(VALU_DEP_2)
	v_mul_u64_e32 v[2:3], s[18:19], v[8:9]
	s_lshl_b64 s[18:19], s[10:11], 9
	v_add_nc_u32_e32 v0, v0, v6
	s_delay_alu instid0(VALU_DEP_1) | instskip(NEXT) | instid1(VALU_DEP_1)
	v_ashrrev_i32_e32 v1, 31, v0
	v_mul_u64_e32 v[10:11], s[30:31], v[0:1]
	v_mul_u64_e32 v[12:13], s[10:11], v[0:1]
	v_sub_nc_u32_e32 v1, s1, v6
	v_cmp_gt_i32_e64 s1, s21, v8
	s_mov_b64 s[20:21], 0xfffffffffffffe00
	s_lshl_b64 s[10:11], s[30:31], 9
	s_add_nc_u64 s[18:19], s[18:19], s[20:21]
	v_add_nc_u32_e32 v4, v1, v4
	v_add_nc_u32_e32 v1, 0x2000, v22
	s_delay_alu instid0(VALU_DEP_2) | instskip(SKIP_2) | instid1(VALU_DEP_3)
	v_lshlrev_b64_e32 v[14:15], 3, v[4:5]
	v_cmp_lt_i32_e64 s2, -1, v4
	v_lshlrev_b64_e32 v[6:7], 3, v[10:11]
	v_lshl_add_u64 v[8:9], v[12:13], 3, v[14:15]
	s_branch .LBB1_4
.LBB1_2:                                ;   in Loop: Header=BB1_4 Depth=1
	s_wait_xcnt 0x0
	s_or_b32 exec_lo, exec_lo, s3
	flat_store_b64 v[10:11], v[16:17]
.LBB1_3:                                ;   in Loop: Header=BB1_4 Depth=1
	s_wait_xcnt 0x0
	s_or_b32 exec_lo, exec_lo, s23
	s_add_co_i32 s4, s4, 0x10000
	s_delay_alu instid0(SALU_CYCLE_1)
	s_cmp_lt_u32 s4, s28
	s_cbranch_scc0 .LBB1_31
.LBB1_4:                                ; =>This Loop Header: Depth=1
                                        ;     Child Loop BB1_24 Depth 2
	s_and_b32 vcc_lo, exec_lo, s29
	s_mov_b32 s3, -1
                                        ; implicit-def: $vgpr10_vgpr11
	s_cbranch_vccnz .LBB1_15
; %bb.5:                                ;   in Loop: Header=BB1_4 Depth=1
	s_and_not1_b32 vcc_lo, exec_lo, s3
	s_cbranch_vccz .LBB1_16
.LBB1_6:                                ;   in Loop: Header=BB1_4 Depth=1
	s_and_b32 vcc_lo, exec_lo, s29
	s_mov_b32 s3, -1
                                        ; implicit-def: $vgpr12_vgpr13
	s_cbranch_vccnz .LBB1_17
.LBB1_7:                                ;   in Loop: Header=BB1_4 Depth=1
	s_and_not1_b32 vcc_lo, exec_lo, s3
	s_cbranch_vccnz .LBB1_9
.LBB1_8:                                ;   in Loop: Header=BB1_4 Depth=1
	s_wait_loadcnt_dscnt 0x0
	s_wait_xcnt 0x0
	ds_load_b64 v[12:13], v22
.LBB1_9:                                ;   in Loop: Header=BB1_4 Depth=1
	s_wait_loadcnt_dscnt 0x0
	v_cmp_neq_f64_e32 vcc_lo, 0, v[10:11]
	v_cmp_neq_f64_e64 s3, 1.0, v[12:13]
	s_or_b32 s3, vcc_lo, s3
	s_wait_xcnt 0x0
	s_and_saveexec_b32 s23, s3
	s_cbranch_execz .LBB1_3
; %bb.10:                               ;   in Loop: Header=BB1_4 Depth=1
	v_cmp_eq_f64_e64 s3, 0, v[10:11]
	v_mov_b64_e32 v[14:15], s[4:5]
	v_cmp_neq_f64_e32 vcc_lo, 0, v[10:11]
	s_and_saveexec_b32 s20, s3
	s_delay_alu instid0(SALU_CYCLE_1)
	s_xor_b32 s3, exec_lo, s20
; %bb.11:                               ;   in Loop: Header=BB1_4 Depth=1
	v_mov_b64_e32 v[14:15], s[4:5]
; %bb.12:                               ;   in Loop: Header=BB1_4 Depth=1
	s_or_saveexec_b32 s3, s3
	v_mov_b64_e32 v[18:19], 0
	v_mov_b64_e32 v[20:21], 0
	s_xor_b32 exec_lo, exec_lo, s3
	s_cbranch_execnz .LBB1_18
; %bb.13:                               ;   in Loop: Header=BB1_4 Depth=1
	s_or_b32 exec_lo, exec_lo, s3
	s_and_saveexec_b32 s3, vcc_lo
	s_cbranch_execnz .LBB1_19
.LBB1_14:                               ;   in Loop: Header=BB1_4 Depth=1
	s_or_b32 exec_lo, exec_lo, s3
	s_delay_alu instid0(SALU_CYCLE_1)
	s_and_b32 exec_lo, exec_lo, s1
	s_cbranch_execz .LBB1_3
	s_branch .LBB1_20
.LBB1_15:                               ;   in Loop: Header=BB1_4 Depth=1
	ds_load_b64 v[10:11], v1
	s_wait_dscnt 0x0
	flat_load_b64 v[10:11], v[10:11]
	s_cbranch_execnz .LBB1_6
.LBB1_16:                               ;   in Loop: Header=BB1_4 Depth=1
	s_wait_loadcnt_dscnt 0x0
	s_wait_xcnt 0x0
	ds_load_b64 v[10:11], v1
	s_and_b32 vcc_lo, exec_lo, s29
	s_mov_b32 s3, -1
                                        ; implicit-def: $vgpr12_vgpr13
	s_cbranch_vccz .LBB1_7
.LBB1_17:                               ;   in Loop: Header=BB1_4 Depth=1
	ds_load_b64 v[12:13], v22
	s_wait_dscnt 0x0
	flat_load_b64 v[12:13], v[12:13]
	s_cbranch_execz .LBB1_8
	s_branch .LBB1_9
.LBB1_18:                               ;   in Loop: Header=BB1_4 Depth=1
	s_lshl_b64 s[20:21], s[4:5], 3
	s_delay_alu instid0(SALU_CYCLE_1)
	s_add_nc_u64 s[20:21], s[6:7], s[20:21]
	global_load_b64 v[16:17], v5, s[20:21]
	s_wait_loadcnt 0x0
	v_add_nc_u64_e32 v[20:21], s[8:9], v[16:17]
	s_wait_xcnt 0x0
	s_or_b32 exec_lo, exec_lo, s3
	s_and_saveexec_b32 s3, vcc_lo
	s_cbranch_execz .LBB1_14
.LBB1_19:                               ;   in Loop: Header=BB1_4 Depth=1
	v_lshl_add_u64 v[16:17], v[14:15], 3, s[24:25]
	global_load_b64 v[16:17], v[16:17], off
	s_wait_loadcnt 0x0
	v_lshl_add_u64 v[18:19], s[26:27], 3, v[16:17]
	s_wait_xcnt 0x0
	s_or_b32 exec_lo, exec_lo, s3
	s_delay_alu instid0(SALU_CYCLE_1)
	s_and_b32 exec_lo, exec_lo, s1
	s_cbranch_execz .LBB1_3
.LBB1_20:                               ;   in Loop: Header=BB1_4 Depth=1
	v_lshl_add_u64 v[14:15], v[14:15], 3, s[14:15]
	v_mov_b64_e32 v[16:17], 0
	global_load_b64 v[14:15], v[14:15], off
	s_wait_xcnt 0x0
	s_and_saveexec_b32 s3, vcc_lo
	s_cbranch_execz .LBB1_28
; %bb.21:                               ;   in Loop: Header=BB1_4 Depth=1
	v_mov_b64_e32 v[16:17], 0
	s_and_saveexec_b32 s30, s2
	s_cbranch_execz .LBB1_27
; %bb.22:                               ;   in Loop: Header=BB1_4 Depth=1
	v_add_nc_u64_e32 v[18:19], v[18:19], v[6:7]
	v_add_nc_u64_e32 v[20:21], v[20:21], v[8:9]
	v_mov_b64_e32 v[16:17], 0
	v_mov_b32_e32 v26, v0
	s_mov_b64 s[20:21], 0
	s_mov_b32 s31, 0
	s_branch .LBB1_24
.LBB1_23:                               ;   in Loop: Header=BB1_24 Depth=2
	s_wait_xcnt 0x0
	s_or_b32 exec_lo, exec_lo, s33
	s_add_nc_u64 s[20:21], s[20:21], s[12:13]
	v_add_nc_u64_e32 v[18:19], s[10:11], v[18:19]
	v_add3_u32 v27, v4, s20, 64
	v_add_nc_u64_e32 v[20:21], s[18:19], v[20:21]
	v_add_nc_u32_e32 v26, 64, v26
	s_delay_alu instid0(VALU_DEP_3) | instskip(SKIP_1) | instid1(SALU_CYCLE_1)
	v_cmp_gt_u32_e32 vcc_lo, 64, v27
	s_or_b32 s31, vcc_lo, s31
	s_and_not1_b32 exec_lo, exec_lo, s31
	s_cbranch_execz .LBB1_26
.LBB1_24:                               ;   Parent Loop BB1_4 Depth=1
                                        ; =>  This Inner Loop Header: Depth=2
	s_mov_b32 s33, exec_lo
	v_cmpx_gt_i32_e64 s22, v26
	s_cbranch_execz .LBB1_23
; %bb.25:                               ;   in Loop: Header=BB1_24 Depth=2
	flat_load_b64 v[28:29], v[20:21]
	flat_load_b64 v[30:31], v[18:19]
	s_wait_loadcnt_dscnt 0x0
	v_fmac_f64_e32 v[16:17], v[28:29], v[30:31]
	s_branch .LBB1_23
.LBB1_26:                               ;   in Loop: Header=BB1_4 Depth=1
	s_or_b32 exec_lo, exec_lo, s31
.LBB1_27:                               ;   in Loop: Header=BB1_4 Depth=1
	s_delay_alu instid0(SALU_CYCLE_1)
	s_or_b32 exec_lo, exec_lo, s30
	ds_bpermute_b32 v18, v24, v16
	ds_bpermute_b32 v19, v24, v17
	v_cmp_gt_u32_e32 vcc_lo, 24, v23
	s_wait_loadcnt_dscnt 0x0
	s_barrier_signal -1
	s_barrier_wait -1
	v_add_f64_e32 v[16:17], v[16:17], v[18:19]
	ds_bpermute_b32 v18, v25, v16
	ds_bpermute_b32 v19, v25, v17
	s_wait_dscnt 0x0
	v_add_f64_e32 v[16:17], v[16:17], v[18:19]
	v_cndmask_b32_e64 v18, 0, 8, vcc_lo
	v_cmp_gt_u32_e32 vcc_lo, 28, v23
	s_delay_alu instid0(VALU_DEP_2)
	v_add_lshl_u32 v19, v18, v23, 2
	ds_bpermute_b32 v18, v19, v16
	ds_bpermute_b32 v19, v19, v17
	s_wait_dscnt 0x0
	v_add_f64_e32 v[16:17], v[16:17], v[18:19]
	v_cndmask_b32_e64 v18, 0, 4, vcc_lo
	v_cmp_gt_u32_e32 vcc_lo, 30, v23
	s_delay_alu instid0(VALU_DEP_2)
	v_add_lshl_u32 v19, v18, v23, 2
	ds_bpermute_b32 v18, v19, v16
	ds_bpermute_b32 v19, v19, v17
	s_wait_dscnt 0x0
	v_add_f64_e32 v[16:17], v[16:17], v[18:19]
	v_cndmask_b32_e64 v18, 0, 2, vcc_lo
	v_cmp_ne_u32_e32 vcc_lo, 31, v23
	s_delay_alu instid0(VALU_DEP_2)
	v_add_lshl_u32 v19, v18, v23, 2
	ds_bpermute_b32 v18, v19, v16
	ds_bpermute_b32 v19, v19, v17
	s_wait_dscnt 0x0
	v_add_f64_e32 v[16:17], v[16:17], v[18:19]
	v_add_co_ci_u32_e64 v18, null, 0, v23, vcc_lo
	s_delay_alu instid0(VALU_DEP_1) | instskip(SKIP_4) | instid1(VALU_DEP_1)
	v_lshlrev_b32_e32 v19, 2, v18
	ds_bpermute_b32 v18, v19, v16
	ds_bpermute_b32 v19, v19, v17
	s_wait_dscnt 0x0
	v_add_f64_e32 v[16:17], v[16:17], v[18:19]
	v_mul_f64_e32 v[16:17], v[10:11], v[16:17]
.LBB1_28:                               ;   in Loop: Header=BB1_4 Depth=1
	s_or_b32 exec_lo, exec_lo, s3
	s_delay_alu instid0(SALU_CYCLE_1)
	s_and_b32 exec_lo, exec_lo, s0
	s_cbranch_execz .LBB1_3
; %bb.29:                               ;   in Loop: Header=BB1_4 Depth=1
	s_wait_loadcnt 0x0
	v_lshl_add_u64 v[10:11], s[16:17], 3, v[14:15]
	s_mov_b32 s3, exec_lo
	s_delay_alu instid0(VALU_DEP_1)
	v_lshl_add_u64 v[10:11], v[2:3], 3, v[10:11]
	v_cmpx_neq_f64_e32 0, v[12:13]
	s_cbranch_execz .LBB1_2
; %bb.30:                               ;   in Loop: Header=BB1_4 Depth=1
	flat_load_b64 v[14:15], v[10:11]
	s_wait_loadcnt_dscnt 0x0
	v_fmac_f64_e32 v[16:17], v[12:13], v[14:15]
	s_branch .LBB1_2
.LBB1_31:
	s_endpgm
	.section	.rodata,"a",@progbits
	.p2align	6, 0x0
	.amdhsa_kernel _ZL20rocblas_gbmvn_kernelILi64ELi16E24rocblas_internal_val_ptrIdEPKPKdPKPdEvbiiiiT1_T2_lllSA_lllS9_T3_llli
		.amdhsa_group_segment_fixed_size 16384
		.amdhsa_private_segment_fixed_size 0
		.amdhsa_kernarg_size 140
		.amdhsa_user_sgpr_count 4
		.amdhsa_user_sgpr_dispatch_ptr 1
		.amdhsa_user_sgpr_queue_ptr 0
		.amdhsa_user_sgpr_kernarg_segment_ptr 1
		.amdhsa_user_sgpr_dispatch_id 0
		.amdhsa_user_sgpr_kernarg_preload_length 0
		.amdhsa_user_sgpr_kernarg_preload_offset 0
		.amdhsa_user_sgpr_private_segment_size 0
		.amdhsa_wavefront_size32 1
		.amdhsa_uses_dynamic_stack 0
		.amdhsa_enable_private_segment 0
		.amdhsa_system_sgpr_workgroup_id_x 1
		.amdhsa_system_sgpr_workgroup_id_y 0
		.amdhsa_system_sgpr_workgroup_id_z 1
		.amdhsa_system_sgpr_workgroup_info 0
		.amdhsa_system_vgpr_workitem_id 2
		.amdhsa_next_free_vgpr 32
		.amdhsa_next_free_sgpr 34
		.amdhsa_named_barrier_count 0
		.amdhsa_reserve_vcc 1
		.amdhsa_float_round_mode_32 0
		.amdhsa_float_round_mode_16_64 0
		.amdhsa_float_denorm_mode_32 3
		.amdhsa_float_denorm_mode_16_64 3
		.amdhsa_fp16_overflow 0
		.amdhsa_memory_ordered 1
		.amdhsa_forward_progress 1
		.amdhsa_inst_pref_size 11
		.amdhsa_round_robin_scheduling 0
		.amdhsa_exception_fp_ieee_invalid_op 0
		.amdhsa_exception_fp_denorm_src 0
		.amdhsa_exception_fp_ieee_div_zero 0
		.amdhsa_exception_fp_ieee_overflow 0
		.amdhsa_exception_fp_ieee_underflow 0
		.amdhsa_exception_fp_ieee_inexact 0
		.amdhsa_exception_int_div_zero 0
	.end_amdhsa_kernel
	.section	.text._ZL20rocblas_gbmvn_kernelILi64ELi16E24rocblas_internal_val_ptrIdEPKPKdPKPdEvbiiiiT1_T2_lllSA_lllS9_T3_llli,"axG",@progbits,_ZL20rocblas_gbmvn_kernelILi64ELi16E24rocblas_internal_val_ptrIdEPKPKdPKPdEvbiiiiT1_T2_lllSA_lllS9_T3_llli,comdat
.Lfunc_end1:
	.size	_ZL20rocblas_gbmvn_kernelILi64ELi16E24rocblas_internal_val_ptrIdEPKPKdPKPdEvbiiiiT1_T2_lllSA_lllS9_T3_llli, .Lfunc_end1-_ZL20rocblas_gbmvn_kernelILi64ELi16E24rocblas_internal_val_ptrIdEPKPKdPKPdEvbiiiiT1_T2_lllSA_lllS9_T3_llli
                                        ; -- End function
	.set _ZL20rocblas_gbmvn_kernelILi64ELi16E24rocblas_internal_val_ptrIdEPKPKdPKPdEvbiiiiT1_T2_lllSA_lllS9_T3_llli.num_vgpr, 32
	.set _ZL20rocblas_gbmvn_kernelILi64ELi16E24rocblas_internal_val_ptrIdEPKPKdPKPdEvbiiiiT1_T2_lllSA_lllS9_T3_llli.num_agpr, 0
	.set _ZL20rocblas_gbmvn_kernelILi64ELi16E24rocblas_internal_val_ptrIdEPKPKdPKPdEvbiiiiT1_T2_lllSA_lllS9_T3_llli.numbered_sgpr, 34
	.set _ZL20rocblas_gbmvn_kernelILi64ELi16E24rocblas_internal_val_ptrIdEPKPKdPKPdEvbiiiiT1_T2_lllSA_lllS9_T3_llli.num_named_barrier, 0
	.set _ZL20rocblas_gbmvn_kernelILi64ELi16E24rocblas_internal_val_ptrIdEPKPKdPKPdEvbiiiiT1_T2_lllSA_lllS9_T3_llli.private_seg_size, 0
	.set _ZL20rocblas_gbmvn_kernelILi64ELi16E24rocblas_internal_val_ptrIdEPKPKdPKPdEvbiiiiT1_T2_lllSA_lllS9_T3_llli.uses_vcc, 1
	.set _ZL20rocblas_gbmvn_kernelILi64ELi16E24rocblas_internal_val_ptrIdEPKPKdPKPdEvbiiiiT1_T2_lllSA_lllS9_T3_llli.uses_flat_scratch, 0
	.set _ZL20rocblas_gbmvn_kernelILi64ELi16E24rocblas_internal_val_ptrIdEPKPKdPKPdEvbiiiiT1_T2_lllSA_lllS9_T3_llli.has_dyn_sized_stack, 0
	.set _ZL20rocblas_gbmvn_kernelILi64ELi16E24rocblas_internal_val_ptrIdEPKPKdPKPdEvbiiiiT1_T2_lllSA_lllS9_T3_llli.has_recursion, 0
	.set _ZL20rocblas_gbmvn_kernelILi64ELi16E24rocblas_internal_val_ptrIdEPKPKdPKPdEvbiiiiT1_T2_lllSA_lllS9_T3_llli.has_indirect_call, 0
	.section	.AMDGPU.csdata,"",@progbits
; Kernel info:
; codeLenInByte = 1372
; TotalNumSgprs: 36
; NumVgprs: 32
; ScratchSize: 0
; MemoryBound: 1
; FloatMode: 240
; IeeeMode: 1
; LDSByteSize: 16384 bytes/workgroup (compile time only)
; SGPRBlocks: 0
; VGPRBlocks: 1
; NumSGPRsForWavesPerEU: 36
; NumVGPRsForWavesPerEU: 32
; NamedBarCnt: 0
; Occupancy: 16
; WaveLimiterHint : 1
; COMPUTE_PGM_RSRC2:SCRATCH_EN: 0
; COMPUTE_PGM_RSRC2:USER_SGPR: 4
; COMPUTE_PGM_RSRC2:TRAP_HANDLER: 0
; COMPUTE_PGM_RSRC2:TGID_X_EN: 1
; COMPUTE_PGM_RSRC2:TGID_Y_EN: 0
; COMPUTE_PGM_RSRC2:TGID_Z_EN: 1
; COMPUTE_PGM_RSRC2:TIDIG_COMP_CNT: 2
	.section	.text._ZL20rocblas_gbmvt_kernelILi32ELi32E24rocblas_internal_val_ptrIdEPKPKdPKPdEvb18rocblas_operation_iiiiT1_T2_lllSB_lllSA_T3_llli,"axG",@progbits,_ZL20rocblas_gbmvt_kernelILi32ELi32E24rocblas_internal_val_ptrIdEPKPKdPKPdEvb18rocblas_operation_iiiiT1_T2_lllSB_lllSA_T3_llli,comdat
	.globl	_ZL20rocblas_gbmvt_kernelILi32ELi32E24rocblas_internal_val_ptrIdEPKPKdPKPdEvb18rocblas_operation_iiiiT1_T2_lllSB_lllSA_T3_llli ; -- Begin function _ZL20rocblas_gbmvt_kernelILi32ELi32E24rocblas_internal_val_ptrIdEPKPKdPKPdEvb18rocblas_operation_iiiiT1_T2_lllSB_lllSA_T3_llli
	.p2align	8
	.type	_ZL20rocblas_gbmvt_kernelILi32ELi32E24rocblas_internal_val_ptrIdEPKPKdPKPdEvb18rocblas_operation_iiiiT1_T2_lllSB_lllSA_T3_llli,@function
_ZL20rocblas_gbmvt_kernelILi32ELi32E24rocblas_internal_val_ptrIdEPKPKdPKPdEvb18rocblas_operation_iiiiT1_T2_lllSB_lllSA_T3_llli: ; @_ZL20rocblas_gbmvt_kernelILi32ELi32E24rocblas_internal_val_ptrIdEPKPKdPKPdEvb18rocblas_operation_iiiiT1_T2_lllSB_lllSA_T3_llli
; %bb.0:
	s_load_b256 s[4:11], s[2:3], 0x18
	s_load_b64 s[20:21], s[0:1], 0x4
	s_load_b256 s[12:19], s[2:3], 0x60
	v_bfe_u32 v1, v0, 10, 10
	s_load_b32 s28, s[2:3], 0x88
	v_and_b32_e32 v24, 0x3ff, v0
	s_wait_xcnt 0x0
	s_lshr_b32 s1, ttmp7, 16
	v_bfe_u32 v0, v0, 20, 10
	s_wait_kmcnt 0x0
	v_dual_mov_b32 v2, s4 :: v_dual_mov_b32 v3, s5
	v_mul_u32_u24_e32 v5, s21, v1
	s_lshr_b32 s0, s20, 16
	s_bfe_u32 s5, ttmp6, 0x40008
	s_mul_i32 s0, s0, s21
	v_mov_b32_e32 v4, s12
	v_mad_u32 v6, s0, v24, v5
	s_bfe_u32 s0, ttmp6, 0x40014
	v_mov_b32_e32 v5, s13
	s_add_co_i32 s0, s0, 1
	s_delay_alu instid0(SALU_CYCLE_1) | instskip(SKIP_4) | instid1(VALU_DEP_2)
	s_mul_i32 s4, s1, s0
	s_getreg_b32 s0, hwreg(HW_REG_IB_STS2, 6, 4)
	s_add_co_i32 s5, s5, s4
	s_cmp_eq_u32 s0, 0
	s_cselect_b32 s4, s1, s5
	v_add_lshl_u32 v25, v6, v0, 3
	s_cmp_ge_u32 s4, s28
	s_mov_b32 s5, 0
	ds_store_2addr_stride64_b64 v25, v[4:5], v[2:3] offset1:16
	s_cbranch_scc1 .LBB2_33
; %bb.1:
	s_clause 0x2
	s_load_b32 s1, s[2:3], 0x0
	s_load_b128 s[20:23], s[2:3], 0x8
	s_load_b64 s[30:31], s[2:3], 0x50
	v_dual_mov_b32 v7, 0 :: v_dual_lshlrev_b32 v6, 3, v24
	s_wait_kmcnt 0x0
	s_bitcmp1_b32 s1, 0
	v_sub_nc_u32_e32 v2, s23, v24
	s_cselect_b32 s1, -1, 0
	s_bfe_u32 s12, ttmp6, 0x4000c
	s_and_b32 s13, ttmp6, 15
	s_add_co_i32 s12, s12, 1
	v_ashrrev_i32_e32 v3, 31, v2
	s_mul_i32 s24, ttmp9, s12
	s_xor_b32 s12, s1, -1
	s_add_co_i32 s13, s13, s24
	s_cmp_eq_u32 s0, 0
	s_load_b128 s[24:27], s[2:3], 0x40
	s_cselect_b32 s0, ttmp9, s13
	s_add_co_i32 s13, s23, s22
	v_lshl_add_u32 v0, s0, 5, v1
	v_cmp_ge_i32_e64 s1, s13, v24
	s_wait_xcnt 0x0
	v_cmp_eq_u32_e64 s2, 0, v24
	s_lshl_b64 s[8:9], s[8:9], 3
	v_ashrrev_i32_e32 v1, 31, v0
	v_cmp_gt_i32_e64 s0, s21, v0
	s_delay_alu instid0(VALU_DEP_2) | instskip(SKIP_3) | instid1(VALU_DEP_3)
	v_sub_nc_u64_e32 v[4:5], v[0:1], v[2:3]
	v_mul_u64_e32 v[10:11], s[10:11], v[0:1]
	v_mbcnt_lo_u32_b32 v3, -1, 0
	s_lshl_b64 s[10:11], s[30:31], 8
	v_mul_u64_e32 v[8:9], s[30:31], v[4:5]
	v_mul_u64_e32 v[4:5], s[18:19], v[0:1]
	v_add_nc_u32_e32 v1, 0x2000, v25
	v_lshl_add_u64 v[10:11], v[10:11], 3, v[6:7]
	v_lshl_or_b32 v6, v3, 2, 64
	v_lshlrev_b64_e32 v[8:9], 3, v[8:9]
	s_branch .LBB2_4
.LBB2_2:                                ;   in Loop: Header=BB2_4 Depth=1
	s_wait_xcnt 0x0
	s_or_b32 exec_lo, exec_lo, s3
	flat_store_b64 v[12:13], v[18:19]
.LBB2_3:                                ;   in Loop: Header=BB2_4 Depth=1
	s_wait_xcnt 0x0
	s_or_b32 exec_lo, exec_lo, s18
	s_add_co_i32 s4, s4, 0x10000
	s_delay_alu instid0(SALU_CYCLE_1)
	s_cmp_lt_u32 s4, s28
	s_cbranch_scc0 .LBB2_33
.LBB2_4:                                ; =>This Loop Header: Depth=1
                                        ;     Child Loop BB2_25 Depth 2
	s_and_b32 vcc_lo, exec_lo, s12
	s_mov_b32 s3, -1
                                        ; implicit-def: $vgpr12_vgpr13
	s_cbranch_vccnz .LBB2_15
; %bb.5:                                ;   in Loop: Header=BB2_4 Depth=1
	s_and_not1_b32 vcc_lo, exec_lo, s3
	s_cbranch_vccz .LBB2_16
.LBB2_6:                                ;   in Loop: Header=BB2_4 Depth=1
	s_and_b32 vcc_lo, exec_lo, s12
	s_mov_b32 s3, -1
                                        ; implicit-def: $vgpr14_vgpr15
	s_cbranch_vccnz .LBB2_17
.LBB2_7:                                ;   in Loop: Header=BB2_4 Depth=1
	s_and_not1_b32 vcc_lo, exec_lo, s3
	s_cbranch_vccnz .LBB2_9
.LBB2_8:                                ;   in Loop: Header=BB2_4 Depth=1
	s_wait_loadcnt_dscnt 0x0
	s_wait_xcnt 0x0
	ds_load_b64 v[14:15], v25
.LBB2_9:                                ;   in Loop: Header=BB2_4 Depth=1
	s_wait_loadcnt_dscnt 0x0
	v_cmp_neq_f64_e32 vcc_lo, 0, v[12:13]
	v_cmp_neq_f64_e64 s3, 1.0, v[14:15]
	s_or_b32 s3, vcc_lo, s3
	s_wait_xcnt 0x0
	s_and_saveexec_b32 s18, s3
	s_cbranch_execz .LBB2_3
; %bb.10:                               ;   in Loop: Header=BB2_4 Depth=1
	v_cmp_eq_f64_e64 s3, 0, v[12:13]
	v_mov_b64_e32 v[16:17], s[4:5]
	v_cmp_neq_f64_e32 vcc_lo, 0, v[12:13]
	s_and_saveexec_b32 s19, s3
	s_delay_alu instid0(SALU_CYCLE_1)
	s_xor_b32 s3, exec_lo, s19
; %bb.11:                               ;   in Loop: Header=BB2_4 Depth=1
	v_mov_b64_e32 v[16:17], s[4:5]
; %bb.12:                               ;   in Loop: Header=BB2_4 Depth=1
	s_or_saveexec_b32 s3, s3
	v_mov_b64_e32 v[22:23], 0
	v_mov_b64_e32 v[20:21], 0
	s_xor_b32 exec_lo, exec_lo, s3
	s_cbranch_execnz .LBB2_18
; %bb.13:                               ;   in Loop: Header=BB2_4 Depth=1
	s_or_b32 exec_lo, exec_lo, s3
	s_and_saveexec_b32 s3, vcc_lo
	s_cbranch_execnz .LBB2_19
.LBB2_14:                               ;   in Loop: Header=BB2_4 Depth=1
	s_or_b32 exec_lo, exec_lo, s3
	s_delay_alu instid0(SALU_CYCLE_1)
	s_and_b32 exec_lo, exec_lo, s0
	s_cbranch_execz .LBB2_3
	s_branch .LBB2_20
.LBB2_15:                               ;   in Loop: Header=BB2_4 Depth=1
	ds_load_b64 v[12:13], v1
	s_wait_dscnt 0x0
	flat_load_b64 v[12:13], v[12:13]
	s_cbranch_execnz .LBB2_6
.LBB2_16:                               ;   in Loop: Header=BB2_4 Depth=1
	s_wait_loadcnt_dscnt 0x0
	s_wait_xcnt 0x0
	ds_load_b64 v[12:13], v1
	s_and_b32 vcc_lo, exec_lo, s12
	s_mov_b32 s3, -1
                                        ; implicit-def: $vgpr14_vgpr15
	s_cbranch_vccz .LBB2_7
.LBB2_17:                               ;   in Loop: Header=BB2_4 Depth=1
	ds_load_b64 v[14:15], v25
	s_wait_dscnt 0x0
	flat_load_b64 v[14:15], v[14:15]
	s_cbranch_execz .LBB2_8
	s_branch .LBB2_9
.LBB2_18:                               ;   in Loop: Header=BB2_4 Depth=1
	s_lshl_b64 s[30:31], s[4:5], 3
	s_delay_alu instid0(SALU_CYCLE_1)
	s_add_nc_u64 s[30:31], s[6:7], s[30:31]
	global_load_b64 v[18:19], v7, s[30:31]
	s_wait_loadcnt 0x0
	v_add_nc_u64_e32 v[20:21], s[8:9], v[18:19]
	s_wait_xcnt 0x0
	s_or_b32 exec_lo, exec_lo, s3
	s_and_saveexec_b32 s3, vcc_lo
	s_cbranch_execz .LBB2_14
.LBB2_19:                               ;   in Loop: Header=BB2_4 Depth=1
	s_wait_kmcnt 0x0
	v_lshl_add_u64 v[18:19], v[16:17], 3, s[24:25]
	global_load_b64 v[18:19], v[18:19], off
	s_wait_loadcnt 0x0
	v_lshl_add_u64 v[22:23], s[26:27], 3, v[18:19]
	s_wait_xcnt 0x0
	s_or_b32 exec_lo, exec_lo, s3
	s_delay_alu instid0(SALU_CYCLE_1)
	s_and_b32 exec_lo, exec_lo, s0
	s_cbranch_execz .LBB2_3
.LBB2_20:                               ;   in Loop: Header=BB2_4 Depth=1
	v_lshl_add_u64 v[16:17], v[16:17], 3, s[14:15]
	v_mov_b64_e32 v[18:19], 0
	global_load_b64 v[16:17], v[16:17], off
	s_wait_xcnt 0x0
	s_and_saveexec_b32 s19, vcc_lo
	s_cbranch_execz .LBB2_30
; %bb.21:                               ;   in Loop: Header=BB2_4 Depth=1
	v_mov_b64_e32 v[18:19], 0
	s_and_saveexec_b32 s21, s1
	s_cbranch_execz .LBB2_29
; %bb.22:                               ;   in Loop: Header=BB2_4 Depth=1
	v_add_nc_u64_e32 v[20:21], v[20:21], v[10:11]
	v_add_nc_u64_e32 v[22:23], v[22:23], v[8:9]
	v_mov_b64_e32 v[18:19], 0
	v_dual_mov_b32 v26, v2 :: v_dual_mov_b32 v27, v24
	s_mov_b32 s22, 0
	s_branch .LBB2_25
.LBB2_23:                               ;   in Loop: Header=BB2_25 Depth=2
	s_wait_xcnt 0x0
	s_or_b32 exec_lo, exec_lo, s3
.LBB2_24:                               ;   in Loop: Header=BB2_25 Depth=2
	s_delay_alu instid0(SALU_CYCLE_1) | instskip(SKIP_4) | instid1(VALU_DEP_4)
	s_or_b32 exec_lo, exec_lo, s29
	v_add_nc_u32_e32 v27, 32, v27
	v_add_nc_u64_e32 v[20:21], 0x100, v[20:21]
	v_add_nc_u64_e32 v[22:23], s[10:11], v[22:23]
	v_subrev_nc_u32_e32 v26, 32, v26
	v_cmp_lt_i32_e32 vcc_lo, s13, v27
	s_or_b32 s22, vcc_lo, s22
	s_delay_alu instid0(SALU_CYCLE_1)
	s_and_not1_b32 exec_lo, exec_lo, s22
	s_cbranch_execz .LBB2_28
.LBB2_25:                               ;   Parent Loop BB2_4 Depth=1
                                        ; =>  This Inner Loop Header: Depth=2
	s_delay_alu instid0(VALU_DEP_1) | instskip(SKIP_1) | instid1(VALU_DEP_1)
	v_add_nc_u32_e32 v28, s20, v26
	s_mov_b32 s29, exec_lo
	v_cmpx_lt_i32_e64 v0, v28
	s_cbranch_execz .LBB2_24
; %bb.26:                               ;   in Loop: Header=BB2_25 Depth=2
	v_cmp_lt_i32_e32 vcc_lo, s23, v27
	v_cmp_ge_i32_e64 s3, v0, v26
	s_or_b32 s30, vcc_lo, s3
	s_delay_alu instid0(SALU_CYCLE_1)
	s_and_saveexec_b32 s3, s30
	s_cbranch_execz .LBB2_23
; %bb.27:                               ;   in Loop: Header=BB2_25 Depth=2
	flat_load_b64 v[28:29], v[20:21]
	flat_load_b64 v[30:31], v[22:23]
	s_wait_loadcnt_dscnt 0x0
	v_fmac_f64_e32 v[18:19], v[28:29], v[30:31]
	s_branch .LBB2_23
.LBB2_28:                               ;   in Loop: Header=BB2_4 Depth=1
	s_or_b32 exec_lo, exec_lo, s22
.LBB2_29:                               ;   in Loop: Header=BB2_4 Depth=1
	s_delay_alu instid0(SALU_CYCLE_1)
	s_or_b32 exec_lo, exec_lo, s21
	ds_bpermute_b32 v20, v6, v18
	ds_bpermute_b32 v21, v6, v19
	v_cmp_gt_u32_e32 vcc_lo, 24, v3
	s_wait_loadcnt_dscnt 0x0
	s_barrier_signal -1
	s_barrier_wait -1
	v_add_f64_e32 v[18:19], v[18:19], v[20:21]
	v_cndmask_b32_e64 v20, 0, 8, vcc_lo
	v_cmp_gt_u32_e32 vcc_lo, 28, v3
	s_delay_alu instid0(VALU_DEP_2)
	v_add_lshl_u32 v21, v20, v3, 2
	ds_bpermute_b32 v20, v21, v18
	ds_bpermute_b32 v21, v21, v19
	s_wait_dscnt 0x0
	v_add_f64_e32 v[18:19], v[18:19], v[20:21]
	v_cndmask_b32_e64 v20, 0, 4, vcc_lo
	v_cmp_gt_u32_e32 vcc_lo, 30, v3
	s_delay_alu instid0(VALU_DEP_2)
	v_add_lshl_u32 v21, v20, v3, 2
	ds_bpermute_b32 v20, v21, v18
	ds_bpermute_b32 v21, v21, v19
	s_wait_dscnt 0x0
	v_add_f64_e32 v[18:19], v[18:19], v[20:21]
	v_cndmask_b32_e64 v20, 0, 2, vcc_lo
	v_cmp_ne_u32_e32 vcc_lo, 31, v3
	s_delay_alu instid0(VALU_DEP_2)
	v_add_lshl_u32 v21, v20, v3, 2
	ds_bpermute_b32 v20, v21, v18
	ds_bpermute_b32 v21, v21, v19
	s_wait_dscnt 0x0
	v_add_f64_e32 v[18:19], v[18:19], v[20:21]
	v_add_co_ci_u32_e64 v20, null, 0, v3, vcc_lo
	s_delay_alu instid0(VALU_DEP_1) | instskip(SKIP_4) | instid1(VALU_DEP_1)
	v_lshlrev_b32_e32 v21, 2, v20
	ds_bpermute_b32 v20, v21, v18
	ds_bpermute_b32 v21, v21, v19
	s_wait_dscnt 0x0
	v_add_f64_e32 v[18:19], v[18:19], v[20:21]
	v_mul_f64_e32 v[18:19], v[12:13], v[18:19]
.LBB2_30:                               ;   in Loop: Header=BB2_4 Depth=1
	s_or_b32 exec_lo, exec_lo, s19
	s_delay_alu instid0(SALU_CYCLE_1)
	s_and_b32 exec_lo, exec_lo, s2
	s_cbranch_execz .LBB2_3
; %bb.31:                               ;   in Loop: Header=BB2_4 Depth=1
	s_wait_loadcnt 0x0
	v_lshl_add_u64 v[12:13], s[16:17], 3, v[16:17]
	s_mov_b32 s3, exec_lo
	s_delay_alu instid0(VALU_DEP_1)
	v_lshl_add_u64 v[12:13], v[4:5], 3, v[12:13]
	v_cmpx_neq_f64_e32 0, v[14:15]
	s_cbranch_execz .LBB2_2
; %bb.32:                               ;   in Loop: Header=BB2_4 Depth=1
	flat_load_b64 v[16:17], v[12:13]
	s_wait_loadcnt_dscnt 0x0
	v_fmac_f64_e32 v[18:19], v[14:15], v[16:17]
	s_branch .LBB2_2
.LBB2_33:
	s_endpgm
	.section	.rodata,"a",@progbits
	.p2align	6, 0x0
	.amdhsa_kernel _ZL20rocblas_gbmvt_kernelILi32ELi32E24rocblas_internal_val_ptrIdEPKPKdPKPdEvb18rocblas_operation_iiiiT1_T2_lllSB_lllSA_T3_llli
		.amdhsa_group_segment_fixed_size 16384
		.amdhsa_private_segment_fixed_size 0
		.amdhsa_kernarg_size 140
		.amdhsa_user_sgpr_count 4
		.amdhsa_user_sgpr_dispatch_ptr 1
		.amdhsa_user_sgpr_queue_ptr 0
		.amdhsa_user_sgpr_kernarg_segment_ptr 1
		.amdhsa_user_sgpr_dispatch_id 0
		.amdhsa_user_sgpr_kernarg_preload_length 0
		.amdhsa_user_sgpr_kernarg_preload_offset 0
		.amdhsa_user_sgpr_private_segment_size 0
		.amdhsa_wavefront_size32 1
		.amdhsa_uses_dynamic_stack 0
		.amdhsa_enable_private_segment 0
		.amdhsa_system_sgpr_workgroup_id_x 1
		.amdhsa_system_sgpr_workgroup_id_y 0
		.amdhsa_system_sgpr_workgroup_id_z 1
		.amdhsa_system_sgpr_workgroup_info 0
		.amdhsa_system_vgpr_workitem_id 2
		.amdhsa_next_free_vgpr 32
		.amdhsa_next_free_sgpr 32
		.amdhsa_named_barrier_count 0
		.amdhsa_reserve_vcc 1
		.amdhsa_float_round_mode_32 0
		.amdhsa_float_round_mode_16_64 0
		.amdhsa_float_denorm_mode_32 3
		.amdhsa_float_denorm_mode_16_64 3
		.amdhsa_fp16_overflow 0
		.amdhsa_memory_ordered 1
		.amdhsa_forward_progress 1
		.amdhsa_inst_pref_size 11
		.amdhsa_round_robin_scheduling 0
		.amdhsa_exception_fp_ieee_invalid_op 0
		.amdhsa_exception_fp_denorm_src 0
		.amdhsa_exception_fp_ieee_div_zero 0
		.amdhsa_exception_fp_ieee_overflow 0
		.amdhsa_exception_fp_ieee_underflow 0
		.amdhsa_exception_fp_ieee_inexact 0
		.amdhsa_exception_int_div_zero 0
	.end_amdhsa_kernel
	.section	.text._ZL20rocblas_gbmvt_kernelILi32ELi32E24rocblas_internal_val_ptrIdEPKPKdPKPdEvb18rocblas_operation_iiiiT1_T2_lllSB_lllSA_T3_llli,"axG",@progbits,_ZL20rocblas_gbmvt_kernelILi32ELi32E24rocblas_internal_val_ptrIdEPKPKdPKPdEvb18rocblas_operation_iiiiT1_T2_lllSB_lllSA_T3_llli,comdat
.Lfunc_end2:
	.size	_ZL20rocblas_gbmvt_kernelILi32ELi32E24rocblas_internal_val_ptrIdEPKPKdPKPdEvb18rocblas_operation_iiiiT1_T2_lllSB_lllSA_T3_llli, .Lfunc_end2-_ZL20rocblas_gbmvt_kernelILi32ELi32E24rocblas_internal_val_ptrIdEPKPKdPKPdEvb18rocblas_operation_iiiiT1_T2_lllSB_lllSA_T3_llli
                                        ; -- End function
	.set _ZL20rocblas_gbmvt_kernelILi32ELi32E24rocblas_internal_val_ptrIdEPKPKdPKPdEvb18rocblas_operation_iiiiT1_T2_lllSB_lllSA_T3_llli.num_vgpr, 32
	.set _ZL20rocblas_gbmvt_kernelILi32ELi32E24rocblas_internal_val_ptrIdEPKPKdPKPdEvb18rocblas_operation_iiiiT1_T2_lllSB_lllSA_T3_llli.num_agpr, 0
	.set _ZL20rocblas_gbmvt_kernelILi32ELi32E24rocblas_internal_val_ptrIdEPKPKdPKPdEvb18rocblas_operation_iiiiT1_T2_lllSB_lllSA_T3_llli.numbered_sgpr, 32
	.set _ZL20rocblas_gbmvt_kernelILi32ELi32E24rocblas_internal_val_ptrIdEPKPKdPKPdEvb18rocblas_operation_iiiiT1_T2_lllSB_lllSA_T3_llli.num_named_barrier, 0
	.set _ZL20rocblas_gbmvt_kernelILi32ELi32E24rocblas_internal_val_ptrIdEPKPKdPKPdEvb18rocblas_operation_iiiiT1_T2_lllSB_lllSA_T3_llli.private_seg_size, 0
	.set _ZL20rocblas_gbmvt_kernelILi32ELi32E24rocblas_internal_val_ptrIdEPKPKdPKPdEvb18rocblas_operation_iiiiT1_T2_lllSB_lllSA_T3_llli.uses_vcc, 1
	.set _ZL20rocblas_gbmvt_kernelILi32ELi32E24rocblas_internal_val_ptrIdEPKPKdPKPdEvb18rocblas_operation_iiiiT1_T2_lllSB_lllSA_T3_llli.uses_flat_scratch, 0
	.set _ZL20rocblas_gbmvt_kernelILi32ELi32E24rocblas_internal_val_ptrIdEPKPKdPKPdEvb18rocblas_operation_iiiiT1_T2_lllSB_lllSA_T3_llli.has_dyn_sized_stack, 0
	.set _ZL20rocblas_gbmvt_kernelILi32ELi32E24rocblas_internal_val_ptrIdEPKPKdPKPdEvb18rocblas_operation_iiiiT1_T2_lllSB_lllSA_T3_llli.has_recursion, 0
	.set _ZL20rocblas_gbmvt_kernelILi32ELi32E24rocblas_internal_val_ptrIdEPKPKdPKPdEvb18rocblas_operation_iiiiT1_T2_lllSB_lllSA_T3_llli.has_indirect_call, 0
	.section	.AMDGPU.csdata,"",@progbits
; Kernel info:
; codeLenInByte = 1336
; TotalNumSgprs: 34
; NumVgprs: 32
; ScratchSize: 0
; MemoryBound: 1
; FloatMode: 240
; IeeeMode: 1
; LDSByteSize: 16384 bytes/workgroup (compile time only)
; SGPRBlocks: 0
; VGPRBlocks: 1
; NumSGPRsForWavesPerEU: 34
; NumVGPRsForWavesPerEU: 32
; NamedBarCnt: 0
; Occupancy: 16
; WaveLimiterHint : 1
; COMPUTE_PGM_RSRC2:SCRATCH_EN: 0
; COMPUTE_PGM_RSRC2:USER_SGPR: 4
; COMPUTE_PGM_RSRC2:TRAP_HANDLER: 0
; COMPUTE_PGM_RSRC2:TGID_X_EN: 1
; COMPUTE_PGM_RSRC2:TGID_Y_EN: 0
; COMPUTE_PGM_RSRC2:TGID_Z_EN: 1
; COMPUTE_PGM_RSRC2:TIDIG_COMP_CNT: 2
	.section	.text._ZL20rocblas_gbmvt_kernelILi64ELi16E24rocblas_internal_val_ptrIdEPKPKdPKPdEvb18rocblas_operation_iiiiT1_T2_lllSB_lllSA_T3_llli,"axG",@progbits,_ZL20rocblas_gbmvt_kernelILi64ELi16E24rocblas_internal_val_ptrIdEPKPKdPKPdEvb18rocblas_operation_iiiiT1_T2_lllSB_lllSA_T3_llli,comdat
	.globl	_ZL20rocblas_gbmvt_kernelILi64ELi16E24rocblas_internal_val_ptrIdEPKPKdPKPdEvb18rocblas_operation_iiiiT1_T2_lllSB_lllSA_T3_llli ; -- Begin function _ZL20rocblas_gbmvt_kernelILi64ELi16E24rocblas_internal_val_ptrIdEPKPKdPKPdEvb18rocblas_operation_iiiiT1_T2_lllSB_lllSA_T3_llli
	.p2align	8
	.type	_ZL20rocblas_gbmvt_kernelILi64ELi16E24rocblas_internal_val_ptrIdEPKPKdPKPdEvb18rocblas_operation_iiiiT1_T2_lllSB_lllSA_T3_llli,@function
_ZL20rocblas_gbmvt_kernelILi64ELi16E24rocblas_internal_val_ptrIdEPKPKdPKPdEvb18rocblas_operation_iiiiT1_T2_lllSB_lllSA_T3_llli: ; @_ZL20rocblas_gbmvt_kernelILi64ELi16E24rocblas_internal_val_ptrIdEPKPKdPKPdEvb18rocblas_operation_iiiiT1_T2_lllSB_lllSA_T3_llli
; %bb.0:
	s_load_b256 s[4:11], s[2:3], 0x18
	s_load_b64 s[20:21], s[0:1], 0x4
	s_load_b256 s[12:19], s[2:3], 0x60
	v_bfe_u32 v1, v0, 10, 10
	s_load_b32 s28, s[2:3], 0x88
	v_and_b32_e32 v24, 0x3ff, v0
	s_wait_xcnt 0x0
	s_lshr_b32 s1, ttmp7, 16
	v_bfe_u32 v0, v0, 20, 10
	s_wait_kmcnt 0x0
	v_dual_mov_b32 v2, s4 :: v_dual_mov_b32 v3, s5
	v_mul_u32_u24_e32 v5, s21, v1
	s_lshr_b32 s0, s20, 16
	s_bfe_u32 s5, ttmp6, 0x40008
	s_mul_i32 s0, s0, s21
	v_mov_b32_e32 v4, s12
	v_mad_u32 v6, s0, v24, v5
	s_bfe_u32 s0, ttmp6, 0x40014
	v_mov_b32_e32 v5, s13
	s_add_co_i32 s0, s0, 1
	s_delay_alu instid0(SALU_CYCLE_1) | instskip(SKIP_4) | instid1(VALU_DEP_2)
	s_mul_i32 s4, s1, s0
	s_getreg_b32 s0, hwreg(HW_REG_IB_STS2, 6, 4)
	s_add_co_i32 s5, s5, s4
	s_cmp_eq_u32 s0, 0
	s_cselect_b32 s4, s1, s5
	v_add_lshl_u32 v25, v6, v0, 3
	s_cmp_ge_u32 s4, s28
	s_mov_b32 s5, 0
	ds_store_2addr_stride64_b64 v25, v[4:5], v[2:3] offset1:16
	s_cbranch_scc1 .LBB3_33
; %bb.1:
	s_clause 0x2
	s_load_b32 s1, s[2:3], 0x0
	s_load_b128 s[20:23], s[2:3], 0x8
	s_load_b64 s[30:31], s[2:3], 0x50
	v_lshlrev_b32_e32 v6, 3, v24
	s_wait_kmcnt 0x0
	s_bitcmp1_b32 s1, 0
	v_sub_nc_u32_e32 v2, s23, v24
	s_cselect_b32 s1, -1, 0
	s_bfe_u32 s12, ttmp6, 0x4000c
	s_and_b32 s13, ttmp6, 15
	s_add_co_i32 s12, s12, 1
	v_ashrrev_i32_e32 v3, 31, v2
	s_mul_i32 s24, ttmp9, s12
	s_xor_b32 s12, s1, -1
	s_add_co_i32 s13, s13, s24
	s_cmp_eq_u32 s0, 0
	s_load_b128 s[24:27], s[2:3], 0x40
	s_cselect_b32 s0, ttmp9, s13
	s_add_co_i32 s13, s23, s22
	v_lshl_add_u32 v0, s0, 4, v1
	v_cmp_ge_i32_e64 s1, s13, v24
	s_wait_xcnt 0x0
	v_cmp_eq_u32_e64 s2, 0, v24
	s_lshl_b64 s[8:9], s[8:9], 3
	v_ashrrev_i32_e32 v1, 31, v0
	v_cmp_gt_i32_e64 s0, s21, v0
	s_delay_alu instid0(VALU_DEP_2) | instskip(SKIP_4) | instid1(VALU_DEP_2)
	v_sub_nc_u64_e32 v[4:5], v[0:1], v[2:3]
	v_mul_u64_e32 v[10:11], s[10:11], v[0:1]
	v_mbcnt_lo_u32_b32 v3, -1, 0
	v_mov_b32_e32 v7, 0
	s_lshl_b64 s[10:11], s[30:31], 9
	v_lshlrev_b32_e32 v26, 2, v3
	v_mul_u64_e32 v[8:9], s[30:31], v[4:5]
	v_mul_u64_e32 v[4:5], s[18:19], v[0:1]
	v_add_nc_u32_e32 v1, 0x2000, v25
	v_lshl_add_u64 v[10:11], v[10:11], 3, v[6:7]
	v_or_b32_e32 v6, 64, v26
	v_lshlrev_b64_e32 v[8:9], 3, v[8:9]
	s_branch .LBB3_4
.LBB3_2:                                ;   in Loop: Header=BB3_4 Depth=1
	s_wait_xcnt 0x0
	s_or_b32 exec_lo, exec_lo, s3
	flat_store_b64 v[12:13], v[18:19]
.LBB3_3:                                ;   in Loop: Header=BB3_4 Depth=1
	s_wait_xcnt 0x0
	s_or_b32 exec_lo, exec_lo, s18
	s_add_co_i32 s4, s4, 0x10000
	s_delay_alu instid0(SALU_CYCLE_1)
	s_cmp_lt_u32 s4, s28
	s_cbranch_scc0 .LBB3_33
.LBB3_4:                                ; =>This Loop Header: Depth=1
                                        ;     Child Loop BB3_25 Depth 2
	s_and_b32 vcc_lo, exec_lo, s12
	s_mov_b32 s3, -1
                                        ; implicit-def: $vgpr12_vgpr13
	s_cbranch_vccnz .LBB3_15
; %bb.5:                                ;   in Loop: Header=BB3_4 Depth=1
	s_and_not1_b32 vcc_lo, exec_lo, s3
	s_cbranch_vccz .LBB3_16
.LBB3_6:                                ;   in Loop: Header=BB3_4 Depth=1
	s_and_b32 vcc_lo, exec_lo, s12
	s_mov_b32 s3, -1
                                        ; implicit-def: $vgpr14_vgpr15
	s_cbranch_vccnz .LBB3_17
.LBB3_7:                                ;   in Loop: Header=BB3_4 Depth=1
	s_and_not1_b32 vcc_lo, exec_lo, s3
	s_cbranch_vccnz .LBB3_9
.LBB3_8:                                ;   in Loop: Header=BB3_4 Depth=1
	s_wait_loadcnt_dscnt 0x0
	s_wait_xcnt 0x0
	ds_load_b64 v[14:15], v25
.LBB3_9:                                ;   in Loop: Header=BB3_4 Depth=1
	s_wait_loadcnt_dscnt 0x0
	v_cmp_neq_f64_e32 vcc_lo, 0, v[12:13]
	v_cmp_neq_f64_e64 s3, 1.0, v[14:15]
	s_or_b32 s3, vcc_lo, s3
	s_wait_xcnt 0x0
	s_and_saveexec_b32 s18, s3
	s_cbranch_execz .LBB3_3
; %bb.10:                               ;   in Loop: Header=BB3_4 Depth=1
	v_cmp_eq_f64_e64 s3, 0, v[12:13]
	v_mov_b64_e32 v[16:17], s[4:5]
	v_cmp_neq_f64_e32 vcc_lo, 0, v[12:13]
	s_and_saveexec_b32 s19, s3
	s_delay_alu instid0(SALU_CYCLE_1)
	s_xor_b32 s3, exec_lo, s19
; %bb.11:                               ;   in Loop: Header=BB3_4 Depth=1
	v_mov_b64_e32 v[16:17], s[4:5]
; %bb.12:                               ;   in Loop: Header=BB3_4 Depth=1
	s_or_saveexec_b32 s3, s3
	v_mov_b64_e32 v[22:23], 0
	v_mov_b64_e32 v[20:21], 0
	s_xor_b32 exec_lo, exec_lo, s3
	s_cbranch_execnz .LBB3_18
; %bb.13:                               ;   in Loop: Header=BB3_4 Depth=1
	s_or_b32 exec_lo, exec_lo, s3
	s_and_saveexec_b32 s3, vcc_lo
	s_cbranch_execnz .LBB3_19
.LBB3_14:                               ;   in Loop: Header=BB3_4 Depth=1
	s_or_b32 exec_lo, exec_lo, s3
	s_delay_alu instid0(SALU_CYCLE_1)
	s_and_b32 exec_lo, exec_lo, s0
	s_cbranch_execz .LBB3_3
	s_branch .LBB3_20
.LBB3_15:                               ;   in Loop: Header=BB3_4 Depth=1
	ds_load_b64 v[12:13], v1
	s_wait_dscnt 0x0
	flat_load_b64 v[12:13], v[12:13]
	s_cbranch_execnz .LBB3_6
.LBB3_16:                               ;   in Loop: Header=BB3_4 Depth=1
	s_wait_loadcnt_dscnt 0x0
	s_wait_xcnt 0x0
	ds_load_b64 v[12:13], v1
	s_and_b32 vcc_lo, exec_lo, s12
	s_mov_b32 s3, -1
                                        ; implicit-def: $vgpr14_vgpr15
	s_cbranch_vccz .LBB3_7
.LBB3_17:                               ;   in Loop: Header=BB3_4 Depth=1
	ds_load_b64 v[14:15], v25
	s_wait_dscnt 0x0
	flat_load_b64 v[14:15], v[14:15]
	s_cbranch_execz .LBB3_8
	s_branch .LBB3_9
.LBB3_18:                               ;   in Loop: Header=BB3_4 Depth=1
	s_lshl_b64 s[30:31], s[4:5], 3
	s_delay_alu instid0(SALU_CYCLE_1)
	s_add_nc_u64 s[30:31], s[6:7], s[30:31]
	global_load_b64 v[18:19], v7, s[30:31]
	s_wait_loadcnt 0x0
	v_add_nc_u64_e32 v[20:21], s[8:9], v[18:19]
	s_wait_xcnt 0x0
	s_or_b32 exec_lo, exec_lo, s3
	s_and_saveexec_b32 s3, vcc_lo
	s_cbranch_execz .LBB3_14
.LBB3_19:                               ;   in Loop: Header=BB3_4 Depth=1
	s_wait_kmcnt 0x0
	v_lshl_add_u64 v[18:19], v[16:17], 3, s[24:25]
	global_load_b64 v[18:19], v[18:19], off
	s_wait_loadcnt 0x0
	v_lshl_add_u64 v[22:23], s[26:27], 3, v[18:19]
	s_wait_xcnt 0x0
	s_or_b32 exec_lo, exec_lo, s3
	s_delay_alu instid0(SALU_CYCLE_1)
	s_and_b32 exec_lo, exec_lo, s0
	s_cbranch_execz .LBB3_3
.LBB3_20:                               ;   in Loop: Header=BB3_4 Depth=1
	v_lshl_add_u64 v[16:17], v[16:17], 3, s[14:15]
	v_mov_b64_e32 v[18:19], 0
	global_load_b64 v[16:17], v[16:17], off
	s_wait_xcnt 0x0
	s_and_saveexec_b32 s19, vcc_lo
	s_cbranch_execz .LBB3_30
; %bb.21:                               ;   in Loop: Header=BB3_4 Depth=1
	v_mov_b64_e32 v[18:19], 0
	s_and_saveexec_b32 s21, s1
	s_cbranch_execz .LBB3_29
; %bb.22:                               ;   in Loop: Header=BB3_4 Depth=1
	v_add_nc_u64_e32 v[20:21], v[20:21], v[10:11]
	v_add_nc_u64_e32 v[22:23], v[22:23], v[8:9]
	v_mov_b64_e32 v[18:19], 0
	v_dual_mov_b32 v27, v2 :: v_dual_mov_b32 v28, v24
	s_mov_b32 s22, 0
	s_branch .LBB3_25
.LBB3_23:                               ;   in Loop: Header=BB3_25 Depth=2
	s_wait_xcnt 0x0
	s_or_b32 exec_lo, exec_lo, s3
.LBB3_24:                               ;   in Loop: Header=BB3_25 Depth=2
	s_delay_alu instid0(SALU_CYCLE_1) | instskip(SKIP_4) | instid1(VALU_DEP_4)
	s_or_b32 exec_lo, exec_lo, s29
	v_add_nc_u32_e32 v28, 64, v28
	v_add_nc_u64_e32 v[20:21], 0x200, v[20:21]
	v_add_nc_u64_e32 v[22:23], s[10:11], v[22:23]
	v_subrev_nc_u32_e32 v27, 64, v27
	v_cmp_lt_i32_e32 vcc_lo, s13, v28
	s_or_b32 s22, vcc_lo, s22
	s_delay_alu instid0(SALU_CYCLE_1)
	s_and_not1_b32 exec_lo, exec_lo, s22
	s_cbranch_execz .LBB3_28
.LBB3_25:                               ;   Parent Loop BB3_4 Depth=1
                                        ; =>  This Inner Loop Header: Depth=2
	s_delay_alu instid0(VALU_DEP_1) | instskip(SKIP_1) | instid1(VALU_DEP_1)
	v_add_nc_u32_e32 v29, s20, v27
	s_mov_b32 s29, exec_lo
	v_cmpx_lt_i32_e64 v0, v29
	s_cbranch_execz .LBB3_24
; %bb.26:                               ;   in Loop: Header=BB3_25 Depth=2
	v_cmp_lt_i32_e32 vcc_lo, s23, v28
	v_cmp_ge_i32_e64 s3, v0, v27
	s_or_b32 s30, vcc_lo, s3
	s_delay_alu instid0(SALU_CYCLE_1)
	s_and_saveexec_b32 s3, s30
	s_cbranch_execz .LBB3_23
; %bb.27:                               ;   in Loop: Header=BB3_25 Depth=2
	flat_load_b64 v[30:31], v[20:21]
	flat_load_b64 v[32:33], v[22:23]
	s_wait_loadcnt_dscnt 0x0
	v_fmac_f64_e32 v[18:19], v[30:31], v[32:33]
	s_branch .LBB3_23
.LBB3_28:                               ;   in Loop: Header=BB3_4 Depth=1
	s_or_b32 exec_lo, exec_lo, s22
.LBB3_29:                               ;   in Loop: Header=BB3_4 Depth=1
	s_delay_alu instid0(SALU_CYCLE_1)
	s_or_b32 exec_lo, exec_lo, s21
	ds_bpermute_b32 v20, v26, v18
	ds_bpermute_b32 v21, v26, v19
	v_cmp_gt_u32_e32 vcc_lo, 24, v3
	s_wait_loadcnt_dscnt 0x0
	s_barrier_signal -1
	s_barrier_wait -1
	v_add_f64_e32 v[18:19], v[18:19], v[20:21]
	ds_bpermute_b32 v20, v6, v18
	ds_bpermute_b32 v21, v6, v19
	s_wait_dscnt 0x0
	v_add_f64_e32 v[18:19], v[18:19], v[20:21]
	v_cndmask_b32_e64 v20, 0, 8, vcc_lo
	v_cmp_gt_u32_e32 vcc_lo, 28, v3
	s_delay_alu instid0(VALU_DEP_2)
	v_add_lshl_u32 v21, v20, v3, 2
	ds_bpermute_b32 v20, v21, v18
	ds_bpermute_b32 v21, v21, v19
	s_wait_dscnt 0x0
	v_add_f64_e32 v[18:19], v[18:19], v[20:21]
	v_cndmask_b32_e64 v20, 0, 4, vcc_lo
	v_cmp_gt_u32_e32 vcc_lo, 30, v3
	s_delay_alu instid0(VALU_DEP_2)
	v_add_lshl_u32 v21, v20, v3, 2
	ds_bpermute_b32 v20, v21, v18
	ds_bpermute_b32 v21, v21, v19
	s_wait_dscnt 0x0
	v_add_f64_e32 v[18:19], v[18:19], v[20:21]
	v_cndmask_b32_e64 v20, 0, 2, vcc_lo
	v_cmp_ne_u32_e32 vcc_lo, 31, v3
	s_delay_alu instid0(VALU_DEP_2)
	v_add_lshl_u32 v21, v20, v3, 2
	ds_bpermute_b32 v20, v21, v18
	ds_bpermute_b32 v21, v21, v19
	s_wait_dscnt 0x0
	v_add_f64_e32 v[18:19], v[18:19], v[20:21]
	v_add_co_ci_u32_e64 v20, null, 0, v3, vcc_lo
	s_delay_alu instid0(VALU_DEP_1) | instskip(SKIP_4) | instid1(VALU_DEP_1)
	v_lshlrev_b32_e32 v21, 2, v20
	ds_bpermute_b32 v20, v21, v18
	ds_bpermute_b32 v21, v21, v19
	s_wait_dscnt 0x0
	v_add_f64_e32 v[18:19], v[18:19], v[20:21]
	v_mul_f64_e32 v[18:19], v[12:13], v[18:19]
.LBB3_30:                               ;   in Loop: Header=BB3_4 Depth=1
	s_or_b32 exec_lo, exec_lo, s19
	s_delay_alu instid0(SALU_CYCLE_1)
	s_and_b32 exec_lo, exec_lo, s2
	s_cbranch_execz .LBB3_3
; %bb.31:                               ;   in Loop: Header=BB3_4 Depth=1
	s_wait_loadcnt 0x0
	v_lshl_add_u64 v[12:13], s[16:17], 3, v[16:17]
	s_mov_b32 s3, exec_lo
	s_delay_alu instid0(VALU_DEP_1)
	v_lshl_add_u64 v[12:13], v[4:5], 3, v[12:13]
	v_cmpx_neq_f64_e32 0, v[14:15]
	s_cbranch_execz .LBB3_2
; %bb.32:                               ;   in Loop: Header=BB3_4 Depth=1
	flat_load_b64 v[16:17], v[12:13]
	s_wait_loadcnt_dscnt 0x0
	v_fmac_f64_e32 v[18:19], v[14:15], v[16:17]
	s_branch .LBB3_2
.LBB3_33:
	s_endpgm
	.section	.rodata,"a",@progbits
	.p2align	6, 0x0
	.amdhsa_kernel _ZL20rocblas_gbmvt_kernelILi64ELi16E24rocblas_internal_val_ptrIdEPKPKdPKPdEvb18rocblas_operation_iiiiT1_T2_lllSB_lllSA_T3_llli
		.amdhsa_group_segment_fixed_size 16384
		.amdhsa_private_segment_fixed_size 0
		.amdhsa_kernarg_size 140
		.amdhsa_user_sgpr_count 4
		.amdhsa_user_sgpr_dispatch_ptr 1
		.amdhsa_user_sgpr_queue_ptr 0
		.amdhsa_user_sgpr_kernarg_segment_ptr 1
		.amdhsa_user_sgpr_dispatch_id 0
		.amdhsa_user_sgpr_kernarg_preload_length 0
		.amdhsa_user_sgpr_kernarg_preload_offset 0
		.amdhsa_user_sgpr_private_segment_size 0
		.amdhsa_wavefront_size32 1
		.amdhsa_uses_dynamic_stack 0
		.amdhsa_enable_private_segment 0
		.amdhsa_system_sgpr_workgroup_id_x 1
		.amdhsa_system_sgpr_workgroup_id_y 0
		.amdhsa_system_sgpr_workgroup_id_z 1
		.amdhsa_system_sgpr_workgroup_info 0
		.amdhsa_system_vgpr_workitem_id 2
		.amdhsa_next_free_vgpr 34
		.amdhsa_next_free_sgpr 32
		.amdhsa_named_barrier_count 0
		.amdhsa_reserve_vcc 1
		.amdhsa_float_round_mode_32 0
		.amdhsa_float_round_mode_16_64 0
		.amdhsa_float_denorm_mode_32 3
		.amdhsa_float_denorm_mode_16_64 3
		.amdhsa_fp16_overflow 0
		.amdhsa_memory_ordered 1
		.amdhsa_forward_progress 1
		.amdhsa_inst_pref_size 11
		.amdhsa_round_robin_scheduling 0
		.amdhsa_exception_fp_ieee_invalid_op 0
		.amdhsa_exception_fp_denorm_src 0
		.amdhsa_exception_fp_ieee_div_zero 0
		.amdhsa_exception_fp_ieee_overflow 0
		.amdhsa_exception_fp_ieee_underflow 0
		.amdhsa_exception_fp_ieee_inexact 0
		.amdhsa_exception_int_div_zero 0
	.end_amdhsa_kernel
	.section	.text._ZL20rocblas_gbmvt_kernelILi64ELi16E24rocblas_internal_val_ptrIdEPKPKdPKPdEvb18rocblas_operation_iiiiT1_T2_lllSB_lllSA_T3_llli,"axG",@progbits,_ZL20rocblas_gbmvt_kernelILi64ELi16E24rocblas_internal_val_ptrIdEPKPKdPKPdEvb18rocblas_operation_iiiiT1_T2_lllSB_lllSA_T3_llli,comdat
.Lfunc_end3:
	.size	_ZL20rocblas_gbmvt_kernelILi64ELi16E24rocblas_internal_val_ptrIdEPKPKdPKPdEvb18rocblas_operation_iiiiT1_T2_lllSB_lllSA_T3_llli, .Lfunc_end3-_ZL20rocblas_gbmvt_kernelILi64ELi16E24rocblas_internal_val_ptrIdEPKPKdPKPdEvb18rocblas_operation_iiiiT1_T2_lllSB_lllSA_T3_llli
                                        ; -- End function
	.set _ZL20rocblas_gbmvt_kernelILi64ELi16E24rocblas_internal_val_ptrIdEPKPKdPKPdEvb18rocblas_operation_iiiiT1_T2_lllSB_lllSA_T3_llli.num_vgpr, 34
	.set _ZL20rocblas_gbmvt_kernelILi64ELi16E24rocblas_internal_val_ptrIdEPKPKdPKPdEvb18rocblas_operation_iiiiT1_T2_lllSB_lllSA_T3_llli.num_agpr, 0
	.set _ZL20rocblas_gbmvt_kernelILi64ELi16E24rocblas_internal_val_ptrIdEPKPKdPKPdEvb18rocblas_operation_iiiiT1_T2_lllSB_lllSA_T3_llli.numbered_sgpr, 32
	.set _ZL20rocblas_gbmvt_kernelILi64ELi16E24rocblas_internal_val_ptrIdEPKPKdPKPdEvb18rocblas_operation_iiiiT1_T2_lllSB_lllSA_T3_llli.num_named_barrier, 0
	.set _ZL20rocblas_gbmvt_kernelILi64ELi16E24rocblas_internal_val_ptrIdEPKPKdPKPdEvb18rocblas_operation_iiiiT1_T2_lllSB_lllSA_T3_llli.private_seg_size, 0
	.set _ZL20rocblas_gbmvt_kernelILi64ELi16E24rocblas_internal_val_ptrIdEPKPKdPKPdEvb18rocblas_operation_iiiiT1_T2_lllSB_lllSA_T3_llli.uses_vcc, 1
	.set _ZL20rocblas_gbmvt_kernelILi64ELi16E24rocblas_internal_val_ptrIdEPKPKdPKPdEvb18rocblas_operation_iiiiT1_T2_lllSB_lllSA_T3_llli.uses_flat_scratch, 0
	.set _ZL20rocblas_gbmvt_kernelILi64ELi16E24rocblas_internal_val_ptrIdEPKPKdPKPdEvb18rocblas_operation_iiiiT1_T2_lllSB_lllSA_T3_llli.has_dyn_sized_stack, 0
	.set _ZL20rocblas_gbmvt_kernelILi64ELi16E24rocblas_internal_val_ptrIdEPKPKdPKPdEvb18rocblas_operation_iiiiT1_T2_lllSB_lllSA_T3_llli.has_recursion, 0
	.set _ZL20rocblas_gbmvt_kernelILi64ELi16E24rocblas_internal_val_ptrIdEPKPKdPKPdEvb18rocblas_operation_iiiiT1_T2_lllSB_lllSA_T3_llli.has_indirect_call, 0
	.section	.AMDGPU.csdata,"",@progbits
; Kernel info:
; codeLenInByte = 1360
; TotalNumSgprs: 34
; NumVgprs: 34
; ScratchSize: 0
; MemoryBound: 1
; FloatMode: 240
; IeeeMode: 1
; LDSByteSize: 16384 bytes/workgroup (compile time only)
; SGPRBlocks: 0
; VGPRBlocks: 2
; NumSGPRsForWavesPerEU: 34
; NumVGPRsForWavesPerEU: 34
; NamedBarCnt: 0
; Occupancy: 16
; WaveLimiterHint : 1
; COMPUTE_PGM_RSRC2:SCRATCH_EN: 0
; COMPUTE_PGM_RSRC2:USER_SGPR: 4
; COMPUTE_PGM_RSRC2:TRAP_HANDLER: 0
; COMPUTE_PGM_RSRC2:TGID_X_EN: 1
; COMPUTE_PGM_RSRC2:TGID_Y_EN: 0
; COMPUTE_PGM_RSRC2:TGID_Z_EN: 1
; COMPUTE_PGM_RSRC2:TIDIG_COMP_CNT: 2
	.section	.text._ZL20rocblas_gbmvn_kernelILi32ELi32E24rocblas_internal_val_ptrI19rocblas_complex_numIfEEPKPKS2_PKPS2_EvbiiiiT1_T2_lllSC_lllSB_T3_llli,"axG",@progbits,_ZL20rocblas_gbmvn_kernelILi32ELi32E24rocblas_internal_val_ptrI19rocblas_complex_numIfEEPKPKS2_PKPS2_EvbiiiiT1_T2_lllSC_lllSB_T3_llli,comdat
	.globl	_ZL20rocblas_gbmvn_kernelILi32ELi32E24rocblas_internal_val_ptrI19rocblas_complex_numIfEEPKPKS2_PKPS2_EvbiiiiT1_T2_lllSC_lllSB_T3_llli ; -- Begin function _ZL20rocblas_gbmvn_kernelILi32ELi32E24rocblas_internal_val_ptrI19rocblas_complex_numIfEEPKPKS2_PKPS2_EvbiiiiT1_T2_lllSC_lllSB_T3_llli
	.p2align	8
	.type	_ZL20rocblas_gbmvn_kernelILi32ELi32E24rocblas_internal_val_ptrI19rocblas_complex_numIfEEPKPKS2_PKPS2_EvbiiiiT1_T2_lllSC_lllSB_T3_llli,@function
_ZL20rocblas_gbmvn_kernelILi32ELi32E24rocblas_internal_val_ptrI19rocblas_complex_numIfEEPKPKS2_PKPS2_EvbiiiiT1_T2_lllSC_lllSB_T3_llli: ; @_ZL20rocblas_gbmvn_kernelILi32ELi32E24rocblas_internal_val_ptrI19rocblas_complex_numIfEEPKPKS2_PKPS2_EvbiiiiT1_T2_lllSC_lllSB_T3_llli
; %bb.0:
	s_load_b32 s3, s[0:1], 0x88
	s_bfe_u32 s2, ttmp6, 0x40014
	s_lshr_b32 s4, ttmp7, 16
	s_add_co_i32 s2, s2, 1
	s_bfe_u32 s6, ttmp6, 0x40008
	s_mul_i32 s5, s4, s2
	s_getreg_b32 s2, hwreg(HW_REG_IB_STS2, 6, 4)
	s_add_co_i32 s6, s6, s5
	s_cmp_eq_u32 s2, 0
	s_mov_b32 s29, 0
	s_cselect_b32 s28, s4, s6
	s_wait_kmcnt 0x0
	s_cmp_ge_u32 s28, s3
	s_cbranch_scc1 .LBB4_30
; %bb.1:
	s_clause 0x1
	s_load_b128 s[20:23], s[0:1], 0x0
	s_load_b32 s34, s[0:1], 0x10
	v_bfe_u32 v1, v0, 10, 10
	s_clause 0x1
	s_load_b64 s[30:31], s[0:1], 0x50
	s_load_b128 s[24:27], s[0:1], 0x40
	v_and_b32_e32 v14, 0x3ff, v0
	s_load_b256 s[12:19], s[0:1], 0x60
	v_mov_b32_e32 v5, 0
	s_wait_kmcnt 0x0
	s_bitcmp1_b32 s20, 0
	v_sub_nc_u32_e32 v4, s34, v14
	s_cselect_b32 s4, -1, 0
	s_bfe_u32 s5, ttmp6, 0x4000c
	s_and_b32 s6, ttmp6, 15
	s_add_co_i32 s5, s5, 1
	s_xor_b32 s33, s4, -1
	s_mul_i32 s5, ttmp9, s5
	s_delay_alu instid0(SALU_CYCLE_1)
	s_add_co_i32 s6, s6, s5
	s_cmp_eq_u32 s2, 0
	s_cselect_b32 s2, ttmp9, s6
	s_load_b256 s[4:11], s[0:1], 0x18
	v_lshl_add_u32 v8, s2, 5, v1
	s_wait_xcnt 0x0
	v_cmp_eq_u32_e64 s0, 0, v14
	s_lshl_b64 s[16:17], s[16:17], 3
	v_subrev_nc_u32_e32 v1, s23, v8
	v_ashrrev_i32_e32 v9, 31, v8
	v_cmp_gt_i32_e64 s1, s21, v8
	s_lshl_b64 s[20:21], s[26:27], 3
	v_max_i32_e32 v0, 0, v1
	v_mul_u64_e32 v[2:3], s[18:19], v[8:9]
	v_min_i32_e32 v9, s23, v8
	s_mov_b64 s[18:19], 0xffffffffffffff00
	s_delay_alu instid0(VALU_DEP_3) | instskip(NEXT) | instid1(VALU_DEP_2)
	v_add_nc_u32_e32 v0, v0, v14
	v_dual_add_nc_u32 v4, v4, v9 :: v_dual_add_nc_u32 v9, s34, v9
	s_wait_kmcnt 0x0
	s_lshl_b64 s[34:35], s[10:11], 8
	s_delay_alu instid0(VALU_DEP_2)
	v_ashrrev_i32_e32 v1, 31, v0
	s_add_nc_u64 s[18:19], s[34:35], s[18:19]
	s_lshl_b64 s[8:9], s[8:9], 3
	v_lshlrev_b64_e32 v[12:13], 3, v[4:5]
	v_sub_nc_u32_e32 v9, v9, v14
	v_mul_u64_e32 v[6:7], s[30:31], v[0:1]
	v_mul_u64_e32 v[10:11], s[10:11], v[0:1]
	v_mbcnt_lo_u32_b32 v1, -1, 0
	v_cmp_lt_i32_e64 s2, -1, v4
	s_lshl_b64 s[10:11], s[30:31], 8
	v_lshl_or_b32 v16, v1, 2, 64
	v_lshlrev_b64_e32 v[6:7], 3, v[6:7]
	v_add_nc_u32_e32 v4, 32, v9
	v_lshl_add_u64 v[8:9], v[10:11], 3, v[12:13]
	s_delay_alu instid0(VALU_DEP_3)
	v_or_b32_e32 v6, 4, v6
	s_branch .LBB4_5
.LBB4_2:                                ;   in Loop: Header=BB4_5 Depth=1
	flat_store_b64 v[10:11], v[12:13]
.LBB4_3:                                ;   in Loop: Header=BB4_5 Depth=1
	s_wait_xcnt 0x0
	s_or_b32 exec_lo, exec_lo, s23
.LBB4_4:                                ;   in Loop: Header=BB4_5 Depth=1
	s_add_co_i32 s28, s28, 0x10000
	s_delay_alu instid0(SALU_CYCLE_1)
	s_cmp_lt_u32 s28, s3
	s_cbranch_scc0 .LBB4_30
.LBB4_5:                                ; =>This Loop Header: Depth=1
                                        ;     Child Loop BB4_23 Depth 2
	s_and_not1_b32 vcc_lo, exec_lo, s33
	s_mov_b64 s[30:31], s[4:5]
	s_cbranch_vccnz .LBB4_7
; %bb.6:                                ;   in Loop: Header=BB4_5 Depth=1
	s_wait_loadcnt 0x0
	global_load_b64 v[10:11], v5, s[4:5]
	s_wait_loadcnt 0x0
	v_readfirstlane_b32 s30, v10
	v_readfirstlane_b32 s31, v11
.LBB4_7:                                ;   in Loop: Header=BB4_5 Depth=1
	s_and_not1_b32 vcc_lo, exec_lo, s33
	s_mov_b64 s[26:27], s[12:13]
	s_cbranch_vccnz .LBB4_9
; %bb.8:                                ;   in Loop: Header=BB4_5 Depth=1
	s_wait_loadcnt 0x0
	global_load_b64 v[10:11], v5, s[12:13]
	s_wait_loadcnt 0x0
	v_readfirstlane_b32 s26, v10
	v_readfirstlane_b32 s27, v11
.LBB4_9:                                ;   in Loop: Header=BB4_5 Depth=1
	s_delay_alu instid0(VALU_DEP_1) | instskip(SKIP_2) | instid1(SALU_CYCLE_1)
	s_or_b32 s23, s30, s31
	s_mov_b32 s35, -1
	s_and_b32 s34, s23, 0x7fffffff
	s_cmp_lg_u32 s34, 0
	s_cselect_b32 s23, -1, 0
	s_cmp_eq_u32 s34, 0
	s_cselect_b32 s34, -1, 0
	s_and_b32 vcc_lo, exec_lo, s23
	s_cbranch_vccz .LBB4_11
; %bb.10:                               ;   in Loop: Header=BB4_5 Depth=1
	s_and_not1_b32 vcc_lo, exec_lo, s35
	s_cbranch_vccnz .LBB4_4
	s_branch .LBB4_12
.LBB4_11:                               ;   in Loop: Header=BB4_5 Depth=1
	s_cmp_neq_f32 s26, 1.0
	s_cselect_b32 s35, -1, 0
	s_and_b32 s36, s27, 0x7fffffff
	s_delay_alu instid0(SALU_CYCLE_1) | instskip(SKIP_1) | instid1(SALU_CYCLE_1)
	s_cmp_lg_u32 s36, 0
	s_cselect_b32 s36, -1, 0
	s_or_b32 s35, s35, s36
	s_delay_alu instid0(SALU_CYCLE_1)
	s_and_not1_b32 vcc_lo, exec_lo, s35
	s_cbranch_vccnz .LBB4_4
.LBB4_12:                               ;   in Loop: Header=BB4_5 Depth=1
	s_and_not1_b32 vcc_lo, exec_lo, s34
	s_cbranch_vccnz .LBB4_14
; %bb.13:                               ;   in Loop: Header=BB4_5 Depth=1
	v_mov_b64_e32 v[14:15], 0
	v_mov_b64_e32 v[12:13], 0
	s_cbranch_execz .LBB4_15
	s_branch .LBB4_16
.LBB4_14:                               ;   in Loop: Header=BB4_5 Depth=1
	v_mov_b64_e32 v[14:15], 0
	v_mov_b64_e32 v[12:13], 0
.LBB4_15:                               ;   in Loop: Header=BB4_5 Depth=1
	s_lshl_b64 s[34:35], s[28:29], 3
	s_delay_alu instid0(SALU_CYCLE_1)
	s_add_nc_u64 s[34:35], s[6:7], s[34:35]
	s_wait_loadcnt 0x0
	global_load_b64 v[10:11], v5, s[34:35]
	s_wait_loadcnt 0x0
	v_add_nc_u64_e32 v[12:13], s[8:9], v[10:11]
.LBB4_16:                               ;   in Loop: Header=BB4_5 Depth=1
	s_and_not1_b32 vcc_lo, exec_lo, s23
	s_cbranch_vccz .LBB4_18
; %bb.17:                               ;   in Loop: Header=BB4_5 Depth=1
	s_wait_xcnt 0x0
	s_and_saveexec_b32 s23, s1
	s_cbranch_execz .LBB4_3
	s_branch .LBB4_19
.LBB4_18:                               ;   in Loop: Header=BB4_5 Depth=1
	s_wait_xcnt 0x0
	s_lshl_b64 s[34:35], s[28:29], 3
	s_delay_alu instid0(SALU_CYCLE_1)
	s_add_nc_u64 s[34:35], s[24:25], s[34:35]
	s_wait_loadcnt 0x0
	global_load_b64 v[10:11], v5, s[34:35]
	s_wait_loadcnt 0x0
	v_add_nc_u64_e32 v[14:15], s[20:21], v[10:11]
	s_wait_xcnt 0x0
	s_and_saveexec_b32 s23, s1
	s_cbranch_execz .LBB4_3
.LBB4_19:                               ;   in Loop: Header=BB4_5 Depth=1
	s_lshl_b64 s[34:35], s[28:29], 3
	s_cmp_neq_f32 s30, 0
	s_add_nc_u64 s[34:35], s[14:15], s[34:35]
	s_wait_loadcnt 0x0
	global_load_b64 v[10:11], v5, s[34:35]
	s_wait_xcnt 0x0
	s_cselect_b32 s34, -1, 0
	s_cmp_neq_f32 s31, 0
	s_cselect_b32 s35, -1, 0
	s_delay_alu instid0(SALU_CYCLE_1) | instskip(NEXT) | instid1(SALU_CYCLE_1)
	s_or_b32 s34, s34, s35
	s_and_not1_b32 vcc_lo, exec_lo, s34
	s_cbranch_vccnz .LBB4_25
; %bb.20:                               ;   in Loop: Header=BB4_5 Depth=1
	v_dual_mov_b32 v17, 0 :: v_dual_mov_b32 v18, 0
	s_and_saveexec_b32 s34, s2
	s_cbranch_execz .LBB4_27
; %bb.21:                               ;   in Loop: Header=BB4_5 Depth=1
	v_add_nc_u64_e32 v[12:13], v[12:13], v[8:9]
	v_add_nc_u64_e32 v[14:15], v[14:15], v[6:7]
	v_dual_mov_b32 v17, 0 :: v_dual_mov_b32 v19, v4
	v_dual_mov_b32 v20, v0 :: v_dual_mov_b32 v18, 0
	s_mov_b32 s35, 0
	s_branch .LBB4_23
.LBB4_22:                               ;   in Loop: Header=BB4_23 Depth=2
	s_wait_xcnt 0x0
	s_or_b32 exec_lo, exec_lo, s36
	v_subrev_nc_u32_e32 v19, 32, v19
	v_add_nc_u64_e32 v[12:13], s[18:19], v[12:13]
	v_add_nc_u64_e32 v[14:15], s[10:11], v[14:15]
	v_add_nc_u32_e32 v20, 32, v20
	s_delay_alu instid0(VALU_DEP_4) | instskip(SKIP_1) | instid1(SALU_CYCLE_1)
	v_cmp_gt_u32_e32 vcc_lo, 32, v19
	s_or_b32 s35, vcc_lo, s35
	s_and_not1_b32 exec_lo, exec_lo, s35
	s_cbranch_execz .LBB4_26
.LBB4_23:                               ;   Parent Loop BB4_5 Depth=1
                                        ; =>  This Inner Loop Header: Depth=2
	s_mov_b32 s36, exec_lo
	s_delay_alu instid0(VALU_DEP_1)
	v_cmpx_gt_i32_e64 s22, v20
	s_cbranch_execz .LBB4_22
; %bb.24:                               ;   in Loop: Header=BB4_23 Depth=2
	flat_load_b64 v[22:23], v[12:13]
	flat_load_b64 v[24:25], v[14:15] offset:-4
	s_wait_loadcnt_dscnt 0x0
	v_dual_mul_f32 v21, v25, v23 :: v_dual_mul_f32 v23, v24, v23
	s_delay_alu instid0(VALU_DEP_1) | instskip(NEXT) | instid1(VALU_DEP_1)
	v_dual_fma_f32 v21, v24, v22, -v21 :: v_dual_fmac_f32 v23, v25, v22
	v_dual_add_f32 v18, v18, v21 :: v_dual_add_f32 v17, v17, v23
	s_branch .LBB4_22
.LBB4_25:                               ;   in Loop: Header=BB4_5 Depth=1
	v_mov_b64_e32 v[12:13], 0
	s_and_b32 exec_lo, exec_lo, s0
	s_cbranch_execz .LBB4_3
	s_branch .LBB4_28
.LBB4_26:                               ;   in Loop: Header=BB4_5 Depth=1
	s_or_b32 exec_lo, exec_lo, s35
.LBB4_27:                               ;   in Loop: Header=BB4_5 Depth=1
	s_delay_alu instid0(SALU_CYCLE_1)
	s_or_b32 exec_lo, exec_lo, s34
	ds_bpermute_b32 v12, v16, v17
	ds_bpermute_b32 v13, v16, v18
	v_cmp_gt_u32_e32 vcc_lo, 24, v1
	s_wait_loadcnt_dscnt 0x0
	s_barrier_signal -1
	s_barrier_wait -1
	v_cndmask_b32_e64 v14, 0, 8, vcc_lo
	v_cmp_gt_u32_e32 vcc_lo, 28, v1
	s_delay_alu instid0(VALU_DEP_2)
	v_add_lshl_u32 v14, v14, v1, 2
	v_dual_add_f32 v12, v17, v12 :: v_dual_add_f32 v13, v18, v13
	v_cndmask_b32_e64 v17, 0, 4, vcc_lo
	v_cmp_gt_u32_e32 vcc_lo, 30, v1
	ds_bpermute_b32 v15, v14, v12
	ds_bpermute_b32 v14, v14, v13
	v_add_lshl_u32 v17, v17, v1, 2
	s_wait_dscnt 0x0
	v_dual_add_f32 v12, v12, v15 :: v_dual_add_f32 v13, v13, v14
	ds_bpermute_b32 v14, v17, v12
	ds_bpermute_b32 v15, v17, v13
	v_cndmask_b32_e64 v17, 0, 2, vcc_lo
	v_cmp_ne_u32_e32 vcc_lo, 31, v1
	s_delay_alu instid0(VALU_DEP_2)
	v_add_lshl_u32 v17, v17, v1, 2
	s_wait_dscnt 0x0
	v_dual_add_f32 v12, v12, v14 :: v_dual_add_f32 v13, v13, v15
	ds_bpermute_b32 v14, v17, v12
	ds_bpermute_b32 v15, v17, v13
	v_add_co_ci_u32_e64 v17, null, 0, v1, vcc_lo
	s_wait_dscnt 0x1
	s_delay_alu instid0(VALU_DEP_1)
	v_dual_add_f32 v12, v12, v14 :: v_dual_lshlrev_b32 v17, 2, v17
	ds_bpermute_b32 v14, v17, v12
	s_wait_dscnt 0x0
	v_dual_add_f32 v13, v13, v15 :: v_dual_add_f32 v12, v12, v14
	ds_bpermute_b32 v17, v17, v13
	v_mov_b64_e32 v[14:15], s[30:31]
	s_wait_dscnt 0x0
	v_add_f32_e32 v18, v13, v17
	s_delay_alu instid0(VALU_DEP_2) | instskip(NEXT) | instid1(VALU_DEP_1)
	v_pk_mul_f32 v[12:13], v[12:13], v[14:15] op_sel:[0,1] op_sel_hi:[0,0]
	v_pk_fma_f32 v[20:21], v[18:19], v[14:15], v[12:13] op_sel_hi:[0,1,1]
	v_pk_fma_f32 v[12:13], v[18:19], v[14:15], v[12:13] neg_lo:[0,0,1] neg_hi:[0,0,1]
	s_delay_alu instid0(VALU_DEP_2)
	v_mov_b32_e32 v13, v21
	s_and_b32 exec_lo, exec_lo, s0
	s_cbranch_execz .LBB4_3
.LBB4_28:                               ;   in Loop: Header=BB4_5 Depth=1
	s_wait_loadcnt 0x0
	v_add_nc_u64_e32 v[10:11], s[16:17], v[10:11]
	s_or_b32 s30, s26, s27
	s_delay_alu instid0(SALU_CYCLE_1) | instskip(NEXT) | instid1(SALU_CYCLE_1)
	s_bitset0_b32 s30, 31
	s_cmp_eq_u32 s30, 0
	s_delay_alu instid0(VALU_DEP_1)
	v_lshl_add_u64 v[10:11], v[2:3], 3, v[10:11]
	s_cbranch_scc1 .LBB4_2
; %bb.29:                               ;   in Loop: Header=BB4_5 Depth=1
	flat_load_b64 v[14:15], v[10:11]
	v_mov_b64_e32 v[18:19], s[26:27]
	s_wait_loadcnt_dscnt 0x0
	s_delay_alu instid0(VALU_DEP_1) | instskip(NEXT) | instid1(VALU_DEP_1)
	v_pk_mul_f32 v[20:21], v[14:15], v[18:19] op_sel:[1,1] op_sel_hi:[0,1]
	v_pk_fma_f32 v[22:23], v[14:15], s[26:27], v[20:21] op_sel_hi:[1,0,1]
	v_pk_fma_f32 v[14:15], v[14:15], v[18:19], v[20:21] neg_lo:[0,0,1] neg_hi:[0,0,1]
	s_delay_alu instid0(VALU_DEP_2) | instskip(NEXT) | instid1(VALU_DEP_1)
	v_mov_b32_e32 v15, v23
	v_pk_add_f32 v[12:13], v[12:13], v[14:15]
	s_branch .LBB4_2
.LBB4_30:
	s_endpgm
	.section	.rodata,"a",@progbits
	.p2align	6, 0x0
	.amdhsa_kernel _ZL20rocblas_gbmvn_kernelILi32ELi32E24rocblas_internal_val_ptrI19rocblas_complex_numIfEEPKPKS2_PKPS2_EvbiiiiT1_T2_lllSC_lllSB_T3_llli
		.amdhsa_group_segment_fixed_size 0
		.amdhsa_private_segment_fixed_size 0
		.amdhsa_kernarg_size 140
		.amdhsa_user_sgpr_count 2
		.amdhsa_user_sgpr_dispatch_ptr 0
		.amdhsa_user_sgpr_queue_ptr 0
		.amdhsa_user_sgpr_kernarg_segment_ptr 1
		.amdhsa_user_sgpr_dispatch_id 0
		.amdhsa_user_sgpr_kernarg_preload_length 0
		.amdhsa_user_sgpr_kernarg_preload_offset 0
		.amdhsa_user_sgpr_private_segment_size 0
		.amdhsa_wavefront_size32 1
		.amdhsa_uses_dynamic_stack 0
		.amdhsa_enable_private_segment 0
		.amdhsa_system_sgpr_workgroup_id_x 1
		.amdhsa_system_sgpr_workgroup_id_y 0
		.amdhsa_system_sgpr_workgroup_id_z 1
		.amdhsa_system_sgpr_workgroup_info 0
		.amdhsa_system_vgpr_workitem_id 1
		.amdhsa_next_free_vgpr 26
		.amdhsa_next_free_sgpr 37
		.amdhsa_named_barrier_count 0
		.amdhsa_reserve_vcc 1
		.amdhsa_float_round_mode_32 0
		.amdhsa_float_round_mode_16_64 0
		.amdhsa_float_denorm_mode_32 3
		.amdhsa_float_denorm_mode_16_64 3
		.amdhsa_fp16_overflow 0
		.amdhsa_memory_ordered 1
		.amdhsa_forward_progress 1
		.amdhsa_inst_pref_size 12
		.amdhsa_round_robin_scheduling 0
		.amdhsa_exception_fp_ieee_invalid_op 0
		.amdhsa_exception_fp_denorm_src 0
		.amdhsa_exception_fp_ieee_div_zero 0
		.amdhsa_exception_fp_ieee_overflow 0
		.amdhsa_exception_fp_ieee_underflow 0
		.amdhsa_exception_fp_ieee_inexact 0
		.amdhsa_exception_int_div_zero 0
	.end_amdhsa_kernel
	.section	.text._ZL20rocblas_gbmvn_kernelILi32ELi32E24rocblas_internal_val_ptrI19rocblas_complex_numIfEEPKPKS2_PKPS2_EvbiiiiT1_T2_lllSC_lllSB_T3_llli,"axG",@progbits,_ZL20rocblas_gbmvn_kernelILi32ELi32E24rocblas_internal_val_ptrI19rocblas_complex_numIfEEPKPKS2_PKPS2_EvbiiiiT1_T2_lllSC_lllSB_T3_llli,comdat
.Lfunc_end4:
	.size	_ZL20rocblas_gbmvn_kernelILi32ELi32E24rocblas_internal_val_ptrI19rocblas_complex_numIfEEPKPKS2_PKPS2_EvbiiiiT1_T2_lllSC_lllSB_T3_llli, .Lfunc_end4-_ZL20rocblas_gbmvn_kernelILi32ELi32E24rocblas_internal_val_ptrI19rocblas_complex_numIfEEPKPKS2_PKPS2_EvbiiiiT1_T2_lllSC_lllSB_T3_llli
                                        ; -- End function
	.set _ZL20rocblas_gbmvn_kernelILi32ELi32E24rocblas_internal_val_ptrI19rocblas_complex_numIfEEPKPKS2_PKPS2_EvbiiiiT1_T2_lllSC_lllSB_T3_llli.num_vgpr, 26
	.set _ZL20rocblas_gbmvn_kernelILi32ELi32E24rocblas_internal_val_ptrI19rocblas_complex_numIfEEPKPKS2_PKPS2_EvbiiiiT1_T2_lllSC_lllSB_T3_llli.num_agpr, 0
	.set _ZL20rocblas_gbmvn_kernelILi32ELi32E24rocblas_internal_val_ptrI19rocblas_complex_numIfEEPKPKS2_PKPS2_EvbiiiiT1_T2_lllSC_lllSB_T3_llli.numbered_sgpr, 37
	.set _ZL20rocblas_gbmvn_kernelILi32ELi32E24rocblas_internal_val_ptrI19rocblas_complex_numIfEEPKPKS2_PKPS2_EvbiiiiT1_T2_lllSC_lllSB_T3_llli.num_named_barrier, 0
	.set _ZL20rocblas_gbmvn_kernelILi32ELi32E24rocblas_internal_val_ptrI19rocblas_complex_numIfEEPKPKS2_PKPS2_EvbiiiiT1_T2_lllSC_lllSB_T3_llli.private_seg_size, 0
	.set _ZL20rocblas_gbmvn_kernelILi32ELi32E24rocblas_internal_val_ptrI19rocblas_complex_numIfEEPKPKS2_PKPS2_EvbiiiiT1_T2_lllSC_lllSB_T3_llli.uses_vcc, 1
	.set _ZL20rocblas_gbmvn_kernelILi32ELi32E24rocblas_internal_val_ptrI19rocblas_complex_numIfEEPKPKS2_PKPS2_EvbiiiiT1_T2_lllSC_lllSB_T3_llli.uses_flat_scratch, 0
	.set _ZL20rocblas_gbmvn_kernelILi32ELi32E24rocblas_internal_val_ptrI19rocblas_complex_numIfEEPKPKS2_PKPS2_EvbiiiiT1_T2_lllSC_lllSB_T3_llli.has_dyn_sized_stack, 0
	.set _ZL20rocblas_gbmvn_kernelILi32ELi32E24rocblas_internal_val_ptrI19rocblas_complex_numIfEEPKPKS2_PKPS2_EvbiiiiT1_T2_lllSC_lllSB_T3_llli.has_recursion, 0
	.set _ZL20rocblas_gbmvn_kernelILi32ELi32E24rocblas_internal_val_ptrI19rocblas_complex_numIfEEPKPKS2_PKPS2_EvbiiiiT1_T2_lllSC_lllSB_T3_llli.has_indirect_call, 0
	.section	.AMDGPU.csdata,"",@progbits
; Kernel info:
; codeLenInByte = 1420
; TotalNumSgprs: 39
; NumVgprs: 26
; ScratchSize: 0
; MemoryBound: 0
; FloatMode: 240
; IeeeMode: 1
; LDSByteSize: 0 bytes/workgroup (compile time only)
; SGPRBlocks: 0
; VGPRBlocks: 1
; NumSGPRsForWavesPerEU: 39
; NumVGPRsForWavesPerEU: 26
; NamedBarCnt: 0
; Occupancy: 16
; WaveLimiterHint : 1
; COMPUTE_PGM_RSRC2:SCRATCH_EN: 0
; COMPUTE_PGM_RSRC2:USER_SGPR: 2
; COMPUTE_PGM_RSRC2:TRAP_HANDLER: 0
; COMPUTE_PGM_RSRC2:TGID_X_EN: 1
; COMPUTE_PGM_RSRC2:TGID_Y_EN: 0
; COMPUTE_PGM_RSRC2:TGID_Z_EN: 1
; COMPUTE_PGM_RSRC2:TIDIG_COMP_CNT: 1
	.section	.text._ZL20rocblas_gbmvn_kernelILi64ELi16E24rocblas_internal_val_ptrI19rocblas_complex_numIfEEPKPKS2_PKPS2_EvbiiiiT1_T2_lllSC_lllSB_T3_llli,"axG",@progbits,_ZL20rocblas_gbmvn_kernelILi64ELi16E24rocblas_internal_val_ptrI19rocblas_complex_numIfEEPKPKS2_PKPS2_EvbiiiiT1_T2_lllSC_lllSB_T3_llli,comdat
	.globl	_ZL20rocblas_gbmvn_kernelILi64ELi16E24rocblas_internal_val_ptrI19rocblas_complex_numIfEEPKPKS2_PKPS2_EvbiiiiT1_T2_lllSC_lllSB_T3_llli ; -- Begin function _ZL20rocblas_gbmvn_kernelILi64ELi16E24rocblas_internal_val_ptrI19rocblas_complex_numIfEEPKPKS2_PKPS2_EvbiiiiT1_T2_lllSC_lllSB_T3_llli
	.p2align	8
	.type	_ZL20rocblas_gbmvn_kernelILi64ELi16E24rocblas_internal_val_ptrI19rocblas_complex_numIfEEPKPKS2_PKPS2_EvbiiiiT1_T2_lllSC_lllSB_T3_llli,@function
_ZL20rocblas_gbmvn_kernelILi64ELi16E24rocblas_internal_val_ptrI19rocblas_complex_numIfEEPKPKS2_PKPS2_EvbiiiiT1_T2_lllSC_lllSB_T3_llli: ; @_ZL20rocblas_gbmvn_kernelILi64ELi16E24rocblas_internal_val_ptrI19rocblas_complex_numIfEEPKPKS2_PKPS2_EvbiiiiT1_T2_lllSC_lllSB_T3_llli
; %bb.0:
	s_load_b32 s3, s[0:1], 0x88
	s_bfe_u32 s2, ttmp6, 0x40014
	s_lshr_b32 s4, ttmp7, 16
	s_add_co_i32 s2, s2, 1
	s_bfe_u32 s6, ttmp6, 0x40008
	s_mul_i32 s5, s4, s2
	s_getreg_b32 s2, hwreg(HW_REG_IB_STS2, 6, 4)
	s_add_co_i32 s6, s6, s5
	s_cmp_eq_u32 s2, 0
	s_mov_b32 s29, 0
	s_cselect_b32 s28, s4, s6
	s_wait_kmcnt 0x0
	s_cmp_ge_u32 s28, s3
	s_cbranch_scc1 .LBB5_30
; %bb.1:
	s_clause 0x1
	s_load_b128 s[20:23], s[0:1], 0x0
	s_load_b32 s34, s[0:1], 0x10
	v_bfe_u32 v1, v0, 10, 10
	s_clause 0x1
	s_load_b64 s[30:31], s[0:1], 0x50
	s_load_b128 s[24:27], s[0:1], 0x40
	v_and_b32_e32 v14, 0x3ff, v0
	s_load_b256 s[12:19], s[0:1], 0x60
	v_mov_b32_e32 v5, 0
	s_wait_kmcnt 0x0
	s_bitcmp1_b32 s20, 0
	v_sub_nc_u32_e32 v4, s34, v14
	s_cselect_b32 s4, -1, 0
	s_bfe_u32 s5, ttmp6, 0x4000c
	s_and_b32 s6, ttmp6, 15
	s_add_co_i32 s5, s5, 1
	s_xor_b32 s33, s4, -1
	s_mul_i32 s5, ttmp9, s5
	s_delay_alu instid0(SALU_CYCLE_1)
	s_add_co_i32 s6, s6, s5
	s_cmp_eq_u32 s2, 0
	s_cselect_b32 s2, ttmp9, s6
	s_load_b256 s[4:11], s[0:1], 0x18
	v_lshl_add_u32 v8, s2, 4, v1
	s_wait_xcnt 0x0
	v_cmp_eq_u32_e64 s0, 0, v14
	s_lshl_b64 s[16:17], s[16:17], 3
	v_subrev_nc_u32_e32 v1, s23, v8
	v_ashrrev_i32_e32 v9, 31, v8
	v_cmp_gt_i32_e64 s1, s21, v8
	s_lshl_b64 s[20:21], s[26:27], 3
	v_max_i32_e32 v0, 0, v1
	v_mul_u64_e32 v[2:3], s[18:19], v[8:9]
	s_mov_b64 s[18:19], 0xfffffffffffffe00
	s_delay_alu instid0(VALU_DEP_2) | instskip(SKIP_2) | instid1(VALU_DEP_1)
	v_add_nc_u32_e32 v0, v0, v14
	s_wait_kmcnt 0x0
	s_lshl_b64 s[8:9], s[8:9], 3
	v_ashrrev_i32_e32 v1, 31, v0
	s_delay_alu instid0(VALU_DEP_1) | instskip(SKIP_2) | instid1(VALU_DEP_1)
	v_mul_u64_e32 v[6:7], s[30:31], v[0:1]
	v_mul_u64_e32 v[10:11], s[10:11], v[0:1]
	v_mbcnt_lo_u32_b32 v1, -1, 0
	v_dual_lshlrev_b32 v16, 2, v1 :: v_dual_min_i32 v9, s23, v8
	s_delay_alu instid0(VALU_DEP_1) | instskip(SKIP_2) | instid1(VALU_DEP_2)
	v_dual_add_nc_u32 v4, v4, v9 :: v_dual_add_nc_u32 v9, s34, v9
	s_lshl_b64 s[34:35], s[10:11], 9
	s_lshl_b64 s[10:11], s[30:31], 9
	v_or_b32_e32 v17, 64, v16
	s_delay_alu instid0(VALU_DEP_2)
	v_lshlrev_b64_e32 v[12:13], 3, v[4:5]
	v_sub_nc_u32_e32 v9, v9, v14
	v_cmp_lt_i32_e64 s2, -1, v4
	s_add_nc_u64 s[18:19], s[34:35], s[18:19]
	v_lshlrev_b64_e32 v[6:7], 3, v[6:7]
	v_add_nc_u32_e32 v4, 64, v9
	v_lshl_add_u64 v[8:9], v[10:11], 3, v[12:13]
	s_delay_alu instid0(VALU_DEP_3)
	v_or_b32_e32 v6, 4, v6
	s_branch .LBB5_5
.LBB5_2:                                ;   in Loop: Header=BB5_5 Depth=1
	flat_store_b64 v[10:11], v[12:13]
.LBB5_3:                                ;   in Loop: Header=BB5_5 Depth=1
	s_wait_xcnt 0x0
	s_or_b32 exec_lo, exec_lo, s23
.LBB5_4:                                ;   in Loop: Header=BB5_5 Depth=1
	s_add_co_i32 s28, s28, 0x10000
	s_delay_alu instid0(SALU_CYCLE_1)
	s_cmp_lt_u32 s28, s3
	s_cbranch_scc0 .LBB5_30
.LBB5_5:                                ; =>This Loop Header: Depth=1
                                        ;     Child Loop BB5_23 Depth 2
	s_and_not1_b32 vcc_lo, exec_lo, s33
	s_mov_b64 s[30:31], s[4:5]
	s_cbranch_vccnz .LBB5_7
; %bb.6:                                ;   in Loop: Header=BB5_5 Depth=1
	s_wait_loadcnt 0x0
	global_load_b64 v[10:11], v5, s[4:5]
	s_wait_loadcnt 0x0
	v_readfirstlane_b32 s30, v10
	v_readfirstlane_b32 s31, v11
.LBB5_7:                                ;   in Loop: Header=BB5_5 Depth=1
	s_and_not1_b32 vcc_lo, exec_lo, s33
	s_mov_b64 s[26:27], s[12:13]
	s_cbranch_vccnz .LBB5_9
; %bb.8:                                ;   in Loop: Header=BB5_5 Depth=1
	s_wait_loadcnt 0x0
	global_load_b64 v[10:11], v5, s[12:13]
	s_wait_loadcnt 0x0
	v_readfirstlane_b32 s26, v10
	v_readfirstlane_b32 s27, v11
.LBB5_9:                                ;   in Loop: Header=BB5_5 Depth=1
	s_delay_alu instid0(VALU_DEP_1) | instskip(SKIP_2) | instid1(SALU_CYCLE_1)
	s_or_b32 s23, s30, s31
	s_mov_b32 s35, -1
	s_and_b32 s34, s23, 0x7fffffff
	s_cmp_lg_u32 s34, 0
	s_cselect_b32 s23, -1, 0
	s_cmp_eq_u32 s34, 0
	s_cselect_b32 s34, -1, 0
	s_and_b32 vcc_lo, exec_lo, s23
	s_cbranch_vccz .LBB5_11
; %bb.10:                               ;   in Loop: Header=BB5_5 Depth=1
	s_and_not1_b32 vcc_lo, exec_lo, s35
	s_cbranch_vccnz .LBB5_4
	s_branch .LBB5_12
.LBB5_11:                               ;   in Loop: Header=BB5_5 Depth=1
	s_cmp_neq_f32 s26, 1.0
	s_cselect_b32 s35, -1, 0
	s_and_b32 s36, s27, 0x7fffffff
	s_delay_alu instid0(SALU_CYCLE_1) | instskip(SKIP_1) | instid1(SALU_CYCLE_1)
	s_cmp_lg_u32 s36, 0
	s_cselect_b32 s36, -1, 0
	s_or_b32 s35, s35, s36
	s_delay_alu instid0(SALU_CYCLE_1)
	s_and_not1_b32 vcc_lo, exec_lo, s35
	s_cbranch_vccnz .LBB5_4
.LBB5_12:                               ;   in Loop: Header=BB5_5 Depth=1
	s_and_not1_b32 vcc_lo, exec_lo, s34
	s_cbranch_vccnz .LBB5_14
; %bb.13:                               ;   in Loop: Header=BB5_5 Depth=1
	v_mov_b64_e32 v[14:15], 0
	v_mov_b64_e32 v[12:13], 0
	s_cbranch_execz .LBB5_15
	s_branch .LBB5_16
.LBB5_14:                               ;   in Loop: Header=BB5_5 Depth=1
	v_mov_b64_e32 v[14:15], 0
	v_mov_b64_e32 v[12:13], 0
.LBB5_15:                               ;   in Loop: Header=BB5_5 Depth=1
	s_lshl_b64 s[34:35], s[28:29], 3
	s_delay_alu instid0(SALU_CYCLE_1)
	s_add_nc_u64 s[34:35], s[6:7], s[34:35]
	s_wait_loadcnt 0x0
	global_load_b64 v[10:11], v5, s[34:35]
	s_wait_loadcnt 0x0
	v_add_nc_u64_e32 v[12:13], s[8:9], v[10:11]
.LBB5_16:                               ;   in Loop: Header=BB5_5 Depth=1
	s_and_not1_b32 vcc_lo, exec_lo, s23
	s_cbranch_vccz .LBB5_18
; %bb.17:                               ;   in Loop: Header=BB5_5 Depth=1
	s_wait_xcnt 0x0
	s_and_saveexec_b32 s23, s1
	s_cbranch_execz .LBB5_3
	s_branch .LBB5_19
.LBB5_18:                               ;   in Loop: Header=BB5_5 Depth=1
	s_wait_xcnt 0x0
	s_lshl_b64 s[34:35], s[28:29], 3
	s_delay_alu instid0(SALU_CYCLE_1)
	s_add_nc_u64 s[34:35], s[24:25], s[34:35]
	s_wait_loadcnt 0x0
	global_load_b64 v[10:11], v5, s[34:35]
	s_wait_loadcnt 0x0
	v_add_nc_u64_e32 v[14:15], s[20:21], v[10:11]
	s_wait_xcnt 0x0
	s_and_saveexec_b32 s23, s1
	s_cbranch_execz .LBB5_3
.LBB5_19:                               ;   in Loop: Header=BB5_5 Depth=1
	s_lshl_b64 s[34:35], s[28:29], 3
	s_cmp_neq_f32 s30, 0
	s_add_nc_u64 s[34:35], s[14:15], s[34:35]
	s_wait_loadcnt 0x0
	global_load_b64 v[10:11], v5, s[34:35]
	s_wait_xcnt 0x0
	s_cselect_b32 s34, -1, 0
	s_cmp_neq_f32 s31, 0
	s_cselect_b32 s35, -1, 0
	s_delay_alu instid0(SALU_CYCLE_1) | instskip(NEXT) | instid1(SALU_CYCLE_1)
	s_or_b32 s34, s34, s35
	s_and_not1_b32 vcc_lo, exec_lo, s34
	s_cbranch_vccnz .LBB5_25
; %bb.20:                               ;   in Loop: Header=BB5_5 Depth=1
	v_dual_mov_b32 v18, 0 :: v_dual_mov_b32 v19, 0
	s_and_saveexec_b32 s34, s2
	s_cbranch_execz .LBB5_27
; %bb.21:                               ;   in Loop: Header=BB5_5 Depth=1
	v_add_nc_u64_e32 v[12:13], v[12:13], v[8:9]
	v_add_nc_u64_e32 v[14:15], v[14:15], v[6:7]
	v_dual_mov_b32 v18, 0 :: v_dual_mov_b32 v20, v4
	v_dual_mov_b32 v21, v0 :: v_dual_mov_b32 v19, 0
	s_mov_b32 s35, 0
	s_branch .LBB5_23
.LBB5_22:                               ;   in Loop: Header=BB5_23 Depth=2
	s_wait_xcnt 0x0
	s_or_b32 exec_lo, exec_lo, s36
	v_subrev_nc_u32_e32 v20, 64, v20
	v_add_nc_u64_e32 v[12:13], s[18:19], v[12:13]
	v_add_nc_u64_e32 v[14:15], s[10:11], v[14:15]
	v_add_nc_u32_e32 v21, 64, v21
	s_delay_alu instid0(VALU_DEP_4) | instskip(SKIP_1) | instid1(SALU_CYCLE_1)
	v_cmp_gt_u32_e32 vcc_lo, 64, v20
	s_or_b32 s35, vcc_lo, s35
	s_and_not1_b32 exec_lo, exec_lo, s35
	s_cbranch_execz .LBB5_26
.LBB5_23:                               ;   Parent Loop BB5_5 Depth=1
                                        ; =>  This Inner Loop Header: Depth=2
	s_mov_b32 s36, exec_lo
	s_delay_alu instid0(VALU_DEP_1)
	v_cmpx_gt_i32_e64 s22, v21
	s_cbranch_execz .LBB5_22
; %bb.24:                               ;   in Loop: Header=BB5_23 Depth=2
	flat_load_b64 v[22:23], v[12:13]
	flat_load_b64 v[24:25], v[14:15] offset:-4
	s_wait_loadcnt_dscnt 0x0
	v_dual_mul_f32 v26, v25, v23 :: v_dual_mul_f32 v23, v24, v23
	s_delay_alu instid0(VALU_DEP_1) | instskip(NEXT) | instid1(VALU_DEP_1)
	v_dual_fma_f32 v24, v24, v22, -v26 :: v_dual_fmac_f32 v23, v25, v22
	v_dual_add_f32 v19, v19, v24 :: v_dual_add_f32 v18, v18, v23
	s_branch .LBB5_22
.LBB5_25:                               ;   in Loop: Header=BB5_5 Depth=1
	v_mov_b64_e32 v[12:13], 0
	s_and_b32 exec_lo, exec_lo, s0
	s_cbranch_execz .LBB5_3
	s_branch .LBB5_28
.LBB5_26:                               ;   in Loop: Header=BB5_5 Depth=1
	s_or_b32 exec_lo, exec_lo, s35
.LBB5_27:                               ;   in Loop: Header=BB5_5 Depth=1
	s_delay_alu instid0(SALU_CYCLE_1)
	s_or_b32 exec_lo, exec_lo, s34
	ds_bpermute_b32 v12, v16, v18
	ds_bpermute_b32 v13, v16, v19
	v_cmp_gt_u32_e32 vcc_lo, 24, v1
	s_wait_loadcnt_dscnt 0x0
	s_barrier_signal -1
	s_barrier_wait -1
	v_dual_add_f32 v12, v18, v12 :: v_dual_add_f32 v13, v19, v13
	v_cndmask_b32_e64 v18, 0, 8, vcc_lo
	v_cmp_gt_u32_e32 vcc_lo, 28, v1
	ds_bpermute_b32 v14, v17, v12
	ds_bpermute_b32 v15, v17, v13
	v_add_lshl_u32 v18, v18, v1, 2
	s_wait_dscnt 0x0
	v_dual_add_f32 v12, v12, v14 :: v_dual_add_f32 v13, v13, v15
	ds_bpermute_b32 v14, v18, v12
	ds_bpermute_b32 v15, v18, v13
	v_cndmask_b32_e64 v18, 0, 4, vcc_lo
	v_cmp_gt_u32_e32 vcc_lo, 30, v1
	s_delay_alu instid0(VALU_DEP_2)
	v_add_lshl_u32 v18, v18, v1, 2
	s_wait_dscnt 0x0
	v_dual_add_f32 v12, v12, v14 :: v_dual_add_f32 v13, v13, v15
	ds_bpermute_b32 v14, v18, v12
	ds_bpermute_b32 v15, v18, v13
	v_cndmask_b32_e64 v18, 0, 2, vcc_lo
	v_cmp_ne_u32_e32 vcc_lo, 31, v1
	s_delay_alu instid0(VALU_DEP_2)
	v_add_lshl_u32 v18, v18, v1, 2
	s_wait_dscnt 0x0
	v_dual_add_f32 v12, v12, v14 :: v_dual_add_f32 v13, v13, v15
	ds_bpermute_b32 v14, v18, v12
	ds_bpermute_b32 v15, v18, v13
	v_add_co_ci_u32_e64 v18, null, 0, v1, vcc_lo
	s_delay_alu instid0(VALU_DEP_1)
	v_lshlrev_b32_e32 v18, 2, v18
	s_wait_dscnt 0x0
	v_dual_add_f32 v12, v12, v14 :: v_dual_add_f32 v13, v13, v15
	ds_bpermute_b32 v14, v18, v12
	ds_bpermute_b32 v18, v18, v13
	s_wait_dscnt 0x1
	v_add_f32_e32 v12, v12, v14
	v_mov_b64_e32 v[14:15], s[30:31]
	s_wait_dscnt 0x0
	v_add_f32_e32 v18, v13, v18
	s_delay_alu instid0(VALU_DEP_2) | instskip(NEXT) | instid1(VALU_DEP_1)
	v_pk_mul_f32 v[12:13], v[12:13], v[14:15] op_sel:[0,1] op_sel_hi:[0,0]
	v_pk_fma_f32 v[20:21], v[18:19], v[14:15], v[12:13] op_sel_hi:[0,1,1]
	v_pk_fma_f32 v[12:13], v[18:19], v[14:15], v[12:13] neg_lo:[0,0,1] neg_hi:[0,0,1]
	s_delay_alu instid0(VALU_DEP_2)
	v_mov_b32_e32 v13, v21
	s_and_b32 exec_lo, exec_lo, s0
	s_cbranch_execz .LBB5_3
.LBB5_28:                               ;   in Loop: Header=BB5_5 Depth=1
	s_wait_loadcnt 0x0
	v_add_nc_u64_e32 v[10:11], s[16:17], v[10:11]
	s_or_b32 s30, s26, s27
	s_delay_alu instid0(SALU_CYCLE_1) | instskip(NEXT) | instid1(SALU_CYCLE_1)
	s_bitset0_b32 s30, 31
	s_cmp_eq_u32 s30, 0
	s_delay_alu instid0(VALU_DEP_1)
	v_lshl_add_u64 v[10:11], v[2:3], 3, v[10:11]
	s_cbranch_scc1 .LBB5_2
; %bb.29:                               ;   in Loop: Header=BB5_5 Depth=1
	flat_load_b64 v[14:15], v[10:11]
	v_mov_b64_e32 v[18:19], s[26:27]
	s_wait_loadcnt_dscnt 0x0
	s_delay_alu instid0(VALU_DEP_1) | instskip(NEXT) | instid1(VALU_DEP_1)
	v_pk_mul_f32 v[20:21], v[14:15], v[18:19] op_sel:[1,1] op_sel_hi:[0,1]
	v_pk_fma_f32 v[22:23], v[14:15], s[26:27], v[20:21] op_sel_hi:[1,0,1]
	v_pk_fma_f32 v[14:15], v[14:15], v[18:19], v[20:21] neg_lo:[0,0,1] neg_hi:[0,0,1]
	s_delay_alu instid0(VALU_DEP_2) | instskip(NEXT) | instid1(VALU_DEP_1)
	v_mov_b32_e32 v15, v23
	v_pk_add_f32 v[12:13], v[12:13], v[14:15]
	s_branch .LBB5_2
.LBB5_30:
	s_endpgm
	.section	.rodata,"a",@progbits
	.p2align	6, 0x0
	.amdhsa_kernel _ZL20rocblas_gbmvn_kernelILi64ELi16E24rocblas_internal_val_ptrI19rocblas_complex_numIfEEPKPKS2_PKPS2_EvbiiiiT1_T2_lllSC_lllSB_T3_llli
		.amdhsa_group_segment_fixed_size 0
		.amdhsa_private_segment_fixed_size 0
		.amdhsa_kernarg_size 140
		.amdhsa_user_sgpr_count 2
		.amdhsa_user_sgpr_dispatch_ptr 0
		.amdhsa_user_sgpr_queue_ptr 0
		.amdhsa_user_sgpr_kernarg_segment_ptr 1
		.amdhsa_user_sgpr_dispatch_id 0
		.amdhsa_user_sgpr_kernarg_preload_length 0
		.amdhsa_user_sgpr_kernarg_preload_offset 0
		.amdhsa_user_sgpr_private_segment_size 0
		.amdhsa_wavefront_size32 1
		.amdhsa_uses_dynamic_stack 0
		.amdhsa_enable_private_segment 0
		.amdhsa_system_sgpr_workgroup_id_x 1
		.amdhsa_system_sgpr_workgroup_id_y 0
		.amdhsa_system_sgpr_workgroup_id_z 1
		.amdhsa_system_sgpr_workgroup_info 0
		.amdhsa_system_vgpr_workitem_id 1
		.amdhsa_next_free_vgpr 27
		.amdhsa_next_free_sgpr 37
		.amdhsa_named_barrier_count 0
		.amdhsa_reserve_vcc 1
		.amdhsa_float_round_mode_32 0
		.amdhsa_float_round_mode_16_64 0
		.amdhsa_float_denorm_mode_32 3
		.amdhsa_float_denorm_mode_16_64 3
		.amdhsa_fp16_overflow 0
		.amdhsa_memory_ordered 1
		.amdhsa_forward_progress 1
		.amdhsa_inst_pref_size 12
		.amdhsa_round_robin_scheduling 0
		.amdhsa_exception_fp_ieee_invalid_op 0
		.amdhsa_exception_fp_denorm_src 0
		.amdhsa_exception_fp_ieee_div_zero 0
		.amdhsa_exception_fp_ieee_overflow 0
		.amdhsa_exception_fp_ieee_underflow 0
		.amdhsa_exception_fp_ieee_inexact 0
		.amdhsa_exception_int_div_zero 0
	.end_amdhsa_kernel
	.section	.text._ZL20rocblas_gbmvn_kernelILi64ELi16E24rocblas_internal_val_ptrI19rocblas_complex_numIfEEPKPKS2_PKPS2_EvbiiiiT1_T2_lllSC_lllSB_T3_llli,"axG",@progbits,_ZL20rocblas_gbmvn_kernelILi64ELi16E24rocblas_internal_val_ptrI19rocblas_complex_numIfEEPKPKS2_PKPS2_EvbiiiiT1_T2_lllSC_lllSB_T3_llli,comdat
.Lfunc_end5:
	.size	_ZL20rocblas_gbmvn_kernelILi64ELi16E24rocblas_internal_val_ptrI19rocblas_complex_numIfEEPKPKS2_PKPS2_EvbiiiiT1_T2_lllSC_lllSB_T3_llli, .Lfunc_end5-_ZL20rocblas_gbmvn_kernelILi64ELi16E24rocblas_internal_val_ptrI19rocblas_complex_numIfEEPKPKS2_PKPS2_EvbiiiiT1_T2_lllSC_lllSB_T3_llli
                                        ; -- End function
	.set _ZL20rocblas_gbmvn_kernelILi64ELi16E24rocblas_internal_val_ptrI19rocblas_complex_numIfEEPKPKS2_PKPS2_EvbiiiiT1_T2_lllSC_lllSB_T3_llli.num_vgpr, 27
	.set _ZL20rocblas_gbmvn_kernelILi64ELi16E24rocblas_internal_val_ptrI19rocblas_complex_numIfEEPKPKS2_PKPS2_EvbiiiiT1_T2_lllSC_lllSB_T3_llli.num_agpr, 0
	.set _ZL20rocblas_gbmvn_kernelILi64ELi16E24rocblas_internal_val_ptrI19rocblas_complex_numIfEEPKPKS2_PKPS2_EvbiiiiT1_T2_lllSC_lllSB_T3_llli.numbered_sgpr, 37
	.set _ZL20rocblas_gbmvn_kernelILi64ELi16E24rocblas_internal_val_ptrI19rocblas_complex_numIfEEPKPKS2_PKPS2_EvbiiiiT1_T2_lllSC_lllSB_T3_llli.num_named_barrier, 0
	.set _ZL20rocblas_gbmvn_kernelILi64ELi16E24rocblas_internal_val_ptrI19rocblas_complex_numIfEEPKPKS2_PKPS2_EvbiiiiT1_T2_lllSC_lllSB_T3_llli.private_seg_size, 0
	.set _ZL20rocblas_gbmvn_kernelILi64ELi16E24rocblas_internal_val_ptrI19rocblas_complex_numIfEEPKPKS2_PKPS2_EvbiiiiT1_T2_lllSC_lllSB_T3_llli.uses_vcc, 1
	.set _ZL20rocblas_gbmvn_kernelILi64ELi16E24rocblas_internal_val_ptrI19rocblas_complex_numIfEEPKPKS2_PKPS2_EvbiiiiT1_T2_lllSC_lllSB_T3_llli.uses_flat_scratch, 0
	.set _ZL20rocblas_gbmvn_kernelILi64ELi16E24rocblas_internal_val_ptrI19rocblas_complex_numIfEEPKPKS2_PKPS2_EvbiiiiT1_T2_lllSC_lllSB_T3_llli.has_dyn_sized_stack, 0
	.set _ZL20rocblas_gbmvn_kernelILi64ELi16E24rocblas_internal_val_ptrI19rocblas_complex_numIfEEPKPKS2_PKPS2_EvbiiiiT1_T2_lllSC_lllSB_T3_llli.has_recursion, 0
	.set _ZL20rocblas_gbmvn_kernelILi64ELi16E24rocblas_internal_val_ptrI19rocblas_complex_numIfEEPKPKS2_PKPS2_EvbiiiiT1_T2_lllSC_lllSB_T3_llli.has_indirect_call, 0
	.section	.AMDGPU.csdata,"",@progbits
; Kernel info:
; codeLenInByte = 1456
; TotalNumSgprs: 39
; NumVgprs: 27
; ScratchSize: 0
; MemoryBound: 0
; FloatMode: 240
; IeeeMode: 1
; LDSByteSize: 0 bytes/workgroup (compile time only)
; SGPRBlocks: 0
; VGPRBlocks: 1
; NumSGPRsForWavesPerEU: 39
; NumVGPRsForWavesPerEU: 27
; NamedBarCnt: 0
; Occupancy: 16
; WaveLimiterHint : 1
; COMPUTE_PGM_RSRC2:SCRATCH_EN: 0
; COMPUTE_PGM_RSRC2:USER_SGPR: 2
; COMPUTE_PGM_RSRC2:TRAP_HANDLER: 0
; COMPUTE_PGM_RSRC2:TGID_X_EN: 1
; COMPUTE_PGM_RSRC2:TGID_Y_EN: 0
; COMPUTE_PGM_RSRC2:TGID_Z_EN: 1
; COMPUTE_PGM_RSRC2:TIDIG_COMP_CNT: 1
	.section	.text._ZL20rocblas_gbmvt_kernelILi32ELi32E24rocblas_internal_val_ptrI19rocblas_complex_numIfEEPKPKS2_PKPS2_Evb18rocblas_operation_iiiiT1_T2_lllSD_lllSC_T3_llli,"axG",@progbits,_ZL20rocblas_gbmvt_kernelILi32ELi32E24rocblas_internal_val_ptrI19rocblas_complex_numIfEEPKPKS2_PKPS2_Evb18rocblas_operation_iiiiT1_T2_lllSD_lllSC_T3_llli,comdat
	.globl	_ZL20rocblas_gbmvt_kernelILi32ELi32E24rocblas_internal_val_ptrI19rocblas_complex_numIfEEPKPKS2_PKPS2_Evb18rocblas_operation_iiiiT1_T2_lllSD_lllSC_T3_llli ; -- Begin function _ZL20rocblas_gbmvt_kernelILi32ELi32E24rocblas_internal_val_ptrI19rocblas_complex_numIfEEPKPKS2_PKPS2_Evb18rocblas_operation_iiiiT1_T2_lllSD_lllSC_T3_llli
	.p2align	8
	.type	_ZL20rocblas_gbmvt_kernelILi32ELi32E24rocblas_internal_val_ptrI19rocblas_complex_numIfEEPKPKS2_PKPS2_Evb18rocblas_operation_iiiiT1_T2_lllSD_lllSC_T3_llli,@function
_ZL20rocblas_gbmvt_kernelILi32ELi32E24rocblas_internal_val_ptrI19rocblas_complex_numIfEEPKPKS2_PKPS2_Evb18rocblas_operation_iiiiT1_T2_lllSD_lllSC_T3_llli: ; @_ZL20rocblas_gbmvt_kernelILi32ELi32E24rocblas_internal_val_ptrI19rocblas_complex_numIfEEPKPKS2_PKPS2_Evb18rocblas_operation_iiiiT1_T2_lllSD_lllSC_T3_llli
; %bb.0:
	s_load_b32 s33, s[0:1], 0x88
	s_bfe_u32 s2, ttmp6, 0x40014
	s_lshr_b32 s3, ttmp7, 16
	s_add_co_i32 s2, s2, 1
	s_bfe_u32 s5, ttmp6, 0x40008
	s_mul_i32 s4, s3, s2
	s_getreg_b32 s2, hwreg(HW_REG_IB_STS2, 6, 4)
	s_add_co_i32 s5, s5, s4
	s_cmp_eq_u32 s2, 0
	s_mov_b32 s29, 0
	s_cselect_b32 s28, s3, s5
	s_wait_kmcnt 0x0
	s_cmp_ge_u32 s28, s33
	s_cbranch_scc1 .LBB6_36
; %bb.1:
	s_clause 0x2
	s_load_b128 s[20:23], s[0:1], 0x0
	s_load_b64 s[30:31], s[0:1], 0x10
	s_load_b256 s[4:11], s[0:1], 0x18
	v_bfe_u32 v1, v0, 10, 10
	v_and_b32_e32 v20, 0x3ff, v0
	s_load_b128 s[24:27], s[0:1], 0x40
	s_delay_alu instid0(VALU_DEP_1)
	v_dual_mov_b32 v7, 0 :: v_dual_lshlrev_b32 v6, 3, v20
	s_wait_kmcnt 0x0
	s_bitcmp1_b32 s20, 0
	s_cselect_b32 s3, -1, 0
	s_bfe_u32 s12, ttmp6, 0x4000c
	s_and_b32 s13, ttmp6, 15
	s_add_co_i32 s12, s12, 1
	s_xor_b32 s34, s3, -1
	s_mul_i32 s12, ttmp9, s12
	s_delay_alu instid0(SALU_CYCLE_1)
	s_add_co_i32 s13, s13, s12
	s_cmp_eq_u32 s2, 0
	s_load_b64 s[2:3], s[0:1], 0x50
	s_cselect_b32 s12, ttmp9, s13
	s_cmp_lg_u32 s21, 0x71
	v_lshl_add_u32 v2, s12, 5, v1
	v_sub_nc_u32_e32 v0, s31, v20
	s_load_b256 s[12:19], s[0:1], 0x60
	s_cselect_b32 s35, -1, 0
	s_add_co_i32 s30, s31, s30
	s_delay_alu instid0(VALU_DEP_1)
	v_dual_ashrrev_i32 v3, 31, v2 :: v_dual_ashrrev_i32 v1, 31, v0
	s_wait_xcnt 0x0
	v_cmp_eq_u32_e64 s0, 0, v20
	v_cmp_ge_i32_e64 s1, s30, v20
	s_lshl_b64 s[8:9], s[8:9], 3
	v_mul_u64_e32 v[10:11], s[10:11], v[2:3]
	v_sub_nc_u64_e32 v[4:5], v[2:3], v[0:1]
	v_mbcnt_lo_u32_b32 v1, -1, 0
	s_wait_kmcnt 0x0
	s_lshl_b64 s[10:11], s[2:3], 8
	s_delay_alu instid0(VALU_DEP_2)
	v_mul_u64_e32 v[8:9], s[2:3], v[4:5]
	v_cmp_gt_i32_e64 s2, s23, v2
	v_mul_u64_e32 v[4:5], s[18:19], v[2:3]
	s_lshl_b64 s[18:19], s[26:27], 3
	s_lshl_b64 s[16:17], s[16:17], 3
	v_lshl_add_u64 v[10:11], v[10:11], 3, v[6:7]
	s_delay_alu instid0(VALU_DEP_1) | instskip(SKIP_1) | instid1(VALU_DEP_1)
	v_or_b32_e32 v10, 4, v10
	v_lshlrev_b64_e32 v[8:9], 3, v[8:9]
	v_or_b32_e32 v8, 4, v8
	s_branch .LBB6_5
.LBB6_2:                                ;   in Loop: Header=BB6_5 Depth=1
	flat_store_b64 v[12:13], v[14:15]
.LBB6_3:                                ;   in Loop: Header=BB6_5 Depth=1
	s_wait_xcnt 0x0
	s_or_b32 exec_lo, exec_lo, s23
.LBB6_4:                                ;   in Loop: Header=BB6_5 Depth=1
	s_add_co_i32 s28, s28, 0x10000
	s_delay_alu instid0(SALU_CYCLE_1)
	s_cmp_lt_u32 s28, s33
	s_cbranch_scc0 .LBB6_36
.LBB6_5:                                ; =>This Loop Header: Depth=1
                                        ;     Child Loop BB6_25 Depth 2
	s_and_not1_b32 vcc_lo, exec_lo, s34
	s_mov_b64 s[26:27], s[4:5]
	s_cbranch_vccnz .LBB6_7
; %bb.6:                                ;   in Loop: Header=BB6_5 Depth=1
	s_wait_loadcnt 0x0
	global_load_b64 v[12:13], v7, s[4:5]
	s_wait_loadcnt 0x0
	v_readfirstlane_b32 s26, v12
	v_readfirstlane_b32 s27, v13
.LBB6_7:                                ;   in Loop: Header=BB6_5 Depth=1
	s_and_not1_b32 vcc_lo, exec_lo, s34
	s_mov_b64 s[20:21], s[12:13]
	s_cbranch_vccnz .LBB6_9
; %bb.8:                                ;   in Loop: Header=BB6_5 Depth=1
	s_wait_loadcnt 0x0
	global_load_b64 v[12:13], v7, s[12:13]
	s_wait_loadcnt 0x0
	v_readfirstlane_b32 s20, v12
	v_readfirstlane_b32 s21, v13
.LBB6_9:                                ;   in Loop: Header=BB6_5 Depth=1
	s_delay_alu instid0(VALU_DEP_1) | instskip(SKIP_2) | instid1(SALU_CYCLE_1)
	s_or_b32 s3, s26, s27
	s_mov_b32 s36, -1
	s_and_b32 s23, s3, 0x7fffffff
	s_cmp_lg_u32 s23, 0
	s_cselect_b32 s3, -1, 0
	s_cmp_eq_u32 s23, 0
	s_cselect_b32 s23, -1, 0
	s_and_b32 vcc_lo, exec_lo, s3
	s_cbranch_vccz .LBB6_11
; %bb.10:                               ;   in Loop: Header=BB6_5 Depth=1
	s_and_not1_b32 vcc_lo, exec_lo, s36
	s_cbranch_vccnz .LBB6_4
	s_branch .LBB6_12
.LBB6_11:                               ;   in Loop: Header=BB6_5 Depth=1
	s_cmp_neq_f32 s20, 1.0
	s_cselect_b32 s36, -1, 0
	s_and_b32 s37, s21, 0x7fffffff
	s_delay_alu instid0(SALU_CYCLE_1) | instskip(SKIP_1) | instid1(SALU_CYCLE_1)
	s_cmp_lg_u32 s37, 0
	s_cselect_b32 s37, -1, 0
	s_or_b32 s36, s36, s37
	s_delay_alu instid0(SALU_CYCLE_1)
	s_and_not1_b32 vcc_lo, exec_lo, s36
	s_cbranch_vccnz .LBB6_4
.LBB6_12:                               ;   in Loop: Header=BB6_5 Depth=1
	s_and_not1_b32 vcc_lo, exec_lo, s23
	s_cbranch_vccnz .LBB6_14
; %bb.13:                               ;   in Loop: Header=BB6_5 Depth=1
	v_mov_b64_e32 v[16:17], 0
	v_mov_b64_e32 v[14:15], 0
	s_cbranch_execz .LBB6_15
	s_branch .LBB6_16
.LBB6_14:                               ;   in Loop: Header=BB6_5 Depth=1
	v_mov_b64_e32 v[16:17], 0
	v_mov_b64_e32 v[14:15], 0
.LBB6_15:                               ;   in Loop: Header=BB6_5 Depth=1
	s_lshl_b64 s[36:37], s[28:29], 3
	s_delay_alu instid0(SALU_CYCLE_1)
	s_add_nc_u64 s[36:37], s[6:7], s[36:37]
	s_wait_loadcnt 0x0
	global_load_b64 v[12:13], v7, s[36:37]
	s_wait_loadcnt 0x0
	v_add_nc_u64_e32 v[14:15], s[8:9], v[12:13]
.LBB6_16:                               ;   in Loop: Header=BB6_5 Depth=1
	s_and_not1_b32 vcc_lo, exec_lo, s3
	s_cbranch_vccz .LBB6_18
; %bb.17:                               ;   in Loop: Header=BB6_5 Depth=1
	s_wait_xcnt 0x0
	s_and_saveexec_b32 s23, s2
	s_cbranch_execz .LBB6_3
	s_branch .LBB6_19
.LBB6_18:                               ;   in Loop: Header=BB6_5 Depth=1
	s_wait_xcnt 0x0
	s_lshl_b64 s[36:37], s[28:29], 3
	s_delay_alu instid0(SALU_CYCLE_1)
	s_add_nc_u64 s[36:37], s[24:25], s[36:37]
	s_wait_loadcnt 0x0
	global_load_b64 v[12:13], v7, s[36:37]
	s_wait_loadcnt 0x0
	v_add_nc_u64_e32 v[16:17], s[18:19], v[12:13]
	s_wait_xcnt 0x0
	s_and_saveexec_b32 s23, s2
	s_cbranch_execz .LBB6_3
.LBB6_19:                               ;   in Loop: Header=BB6_5 Depth=1
	s_lshl_b64 s[36:37], s[28:29], 3
	s_cmp_neq_f32 s26, 0
	s_add_nc_u64 s[36:37], s[14:15], s[36:37]
	s_wait_loadcnt 0x0
	global_load_b64 v[12:13], v7, s[36:37]
	s_cselect_b32 s3, -1, 0
	s_cmp_neq_f32 s27, 0
	s_wait_xcnt 0x0
	s_cselect_b32 s36, -1, 0
	s_delay_alu instid0(SALU_CYCLE_1) | instskip(NEXT) | instid1(SALU_CYCLE_1)
	s_or_b32 s3, s3, s36
	s_and_not1_b32 vcc_lo, exec_lo, s3
	s_cbranch_vccnz .LBB6_31
; %bb.20:                               ;   in Loop: Header=BB6_5 Depth=1
	v_dual_mov_b32 v3, 0 :: v_dual_mov_b32 v6, 0
	s_and_saveexec_b32 s36, s1
	s_cbranch_execz .LBB6_33
; %bb.21:                               ;   in Loop: Header=BB6_5 Depth=1
	v_add_nc_u64_e32 v[14:15], v[14:15], v[10:11]
	v_add_nc_u64_e32 v[16:17], v[16:17], v[8:9]
	v_dual_mov_b32 v3, 0 :: v_dual_mov_b32 v21, v0
	v_dual_mov_b32 v22, v20 :: v_dual_mov_b32 v6, 0
	s_mov_b32 s37, 0
	s_branch .LBB6_25
.LBB6_22:                               ;   in Loop: Header=BB6_25 Depth=2
	flat_load_b64 v[24:25], v[16:17] offset:-4
	s_wait_loadcnt_dscnt 0x0
	v_dual_mul_f32 v23, v19, v25 :: v_dual_mul_f32 v25, v25, v18
	s_delay_alu instid0(VALU_DEP_1) | instskip(NEXT) | instid1(VALU_DEP_1)
	v_dual_fma_f32 v18, v24, v18, -v23 :: v_dual_fmac_f32 v25, v19, v24
	v_dual_add_f32 v6, v6, v18 :: v_dual_add_f32 v3, v3, v25
.LBB6_23:                               ;   in Loop: Header=BB6_25 Depth=2
	s_wait_xcnt 0x0
	s_or_b32 exec_lo, exec_lo, s3
.LBB6_24:                               ;   in Loop: Header=BB6_25 Depth=2
	s_delay_alu instid0(SALU_CYCLE_1) | instskip(SKIP_4) | instid1(VALU_DEP_4)
	s_or_b32 exec_lo, exec_lo, s38
	v_add_nc_u32_e32 v22, 32, v22
	v_add_nc_u64_e32 v[14:15], 0x100, v[14:15]
	v_add_nc_u64_e32 v[16:17], s[10:11], v[16:17]
	v_subrev_nc_u32_e32 v21, 32, v21
	v_cmp_lt_i32_e32 vcc_lo, s30, v22
	s_or_b32 s37, vcc_lo, s37
	s_delay_alu instid0(SALU_CYCLE_1)
	s_and_not1_b32 exec_lo, exec_lo, s37
	s_cbranch_execz .LBB6_32
.LBB6_25:                               ;   Parent Loop BB6_5 Depth=1
                                        ; =>  This Inner Loop Header: Depth=2
	s_delay_alu instid0(VALU_DEP_2) | instskip(SKIP_1) | instid1(VALU_DEP_1)
	v_add_nc_u32_e32 v18, s22, v21
	s_mov_b32 s38, exec_lo
	v_cmpx_lt_i32_e64 v2, v18
	s_cbranch_execz .LBB6_24
; %bb.26:                               ;   in Loop: Header=BB6_25 Depth=2
	v_cmp_lt_i32_e32 vcc_lo, s31, v22
	v_cmp_ge_i32_e64 s3, v2, v21
	s_or_b32 s39, vcc_lo, s3
	s_delay_alu instid0(SALU_CYCLE_1)
	s_and_saveexec_b32 s3, s39
	s_cbranch_execz .LBB6_23
; %bb.27:                               ;   in Loop: Header=BB6_25 Depth=2
	s_and_b32 vcc_lo, exec_lo, s35
	s_mov_b32 s39, -1
                                        ; implicit-def: $vgpr19
	s_cbranch_vccz .LBB6_29
; %bb.28:                               ;   in Loop: Header=BB6_25 Depth=2
	flat_load_b64 v[18:19], v[14:15] offset:-4
	s_mov_b32 s39, 0
.LBB6_29:                               ;   in Loop: Header=BB6_25 Depth=2
	s_delay_alu instid0(SALU_CYCLE_1)
	s_and_not1_b32 vcc_lo, exec_lo, s39
	s_cbranch_vccnz .LBB6_22
; %bb.30:                               ;   in Loop: Header=BB6_25 Depth=2
	s_wait_loadcnt_dscnt 0x0
	flat_load_b64 v[18:19], v[14:15] offset:-4
	s_wait_loadcnt_dscnt 0x0
	v_xor_b32_e32 v19, 0x80000000, v19
	s_branch .LBB6_22
.LBB6_31:                               ;   in Loop: Header=BB6_5 Depth=1
	v_mov_b64_e32 v[14:15], 0
	s_and_b32 exec_lo, exec_lo, s0
	s_cbranch_execz .LBB6_3
	s_branch .LBB6_34
.LBB6_32:                               ;   in Loop: Header=BB6_5 Depth=1
	s_or_b32 exec_lo, exec_lo, s37
.LBB6_33:                               ;   in Loop: Header=BB6_5 Depth=1
	s_delay_alu instid0(SALU_CYCLE_1)
	s_or_b32 exec_lo, exec_lo, s36
	v_lshl_or_b32 v14, v1, 2, 64
	v_cmp_gt_u32_e32 vcc_lo, 24, v1
	s_wait_loadcnt 0x0
	s_barrier_signal -1
	s_barrier_wait -1
	ds_bpermute_b32 v15, v14, v3
	ds_bpermute_b32 v14, v14, v6
	v_cndmask_b32_e64 v16, 0, 8, vcc_lo
	v_cmp_gt_u32_e32 vcc_lo, 28, v1
	s_wait_dscnt 0x0
	s_delay_alu instid0(VALU_DEP_2)
	v_add_lshl_u32 v16, v16, v1, 2
	v_dual_add_f32 v3, v3, v15 :: v_dual_add_f32 v6, v6, v14
	ds_bpermute_b32 v14, v16, v3
	ds_bpermute_b32 v15, v16, v6
	v_cndmask_b32_e64 v16, 0, 4, vcc_lo
	v_cmp_gt_u32_e32 vcc_lo, 30, v1
	s_delay_alu instid0(VALU_DEP_2)
	v_add_lshl_u32 v16, v16, v1, 2
	s_wait_dscnt 0x0
	v_dual_add_f32 v3, v3, v14 :: v_dual_add_f32 v6, v6, v15
	ds_bpermute_b32 v14, v16, v3
	ds_bpermute_b32 v15, v16, v6
	v_cndmask_b32_e64 v16, 0, 2, vcc_lo
	v_cmp_ne_u32_e32 vcc_lo, 31, v1
	s_delay_alu instid0(VALU_DEP_2)
	v_add_lshl_u32 v16, v16, v1, 2
	s_wait_dscnt 0x0
	v_dual_add_f32 v3, v3, v14 :: v_dual_add_f32 v6, v6, v15
	ds_bpermute_b32 v14, v16, v3
	ds_bpermute_b32 v15, v16, v6
	v_add_co_ci_u32_e64 v16, null, 0, v1, vcc_lo
	s_wait_dscnt 0x1
	s_delay_alu instid0(VALU_DEP_1)
	v_dual_add_f32 v3, v3, v14 :: v_dual_lshlrev_b32 v16, 2, v16
	s_wait_dscnt 0x0
	v_add_f32_e32 v17, v6, v15
	v_mov_b64_e32 v[14:15], s[26:27]
	ds_bpermute_b32 v6, v16, v3
	s_wait_dscnt 0x0
	v_add_f32_e32 v6, v3, v6
	ds_bpermute_b32 v16, v16, v17
	v_pk_mul_f32 v[18:19], v[6:7], v[14:15] op_sel:[0,1] op_sel_hi:[0,0]
	s_wait_dscnt 0x0
	v_add_f32_e32 v16, v17, v16
	s_delay_alu instid0(VALU_DEP_1) | instskip(SKIP_1) | instid1(VALU_DEP_2)
	v_pk_fma_f32 v[22:23], v[16:17], v[14:15], v[18:19] op_sel_hi:[0,1,1]
	v_pk_fma_f32 v[14:15], v[16:17], v[14:15], v[18:19] neg_lo:[0,0,1] neg_hi:[0,0,1]
	v_mov_b32_e32 v15, v23
	s_and_b32 exec_lo, exec_lo, s0
	s_cbranch_execz .LBB6_3
.LBB6_34:                               ;   in Loop: Header=BB6_5 Depth=1
	s_wait_loadcnt 0x0
	v_add_nc_u64_e32 v[12:13], s[16:17], v[12:13]
	s_or_b32 s3, s20, s21
	s_delay_alu instid0(SALU_CYCLE_1) | instskip(NEXT) | instid1(SALU_CYCLE_1)
	s_bitset0_b32 s3, 31
	s_cmp_eq_u32 s3, 0
	s_delay_alu instid0(VALU_DEP_1)
	v_lshl_add_u64 v[12:13], v[4:5], 3, v[12:13]
	s_cbranch_scc1 .LBB6_2
; %bb.35:                               ;   in Loop: Header=BB6_5 Depth=1
	flat_load_b64 v[16:17], v[12:13]
	v_mov_b64_e32 v[18:19], s[20:21]
	s_wait_loadcnt_dscnt 0x0
	s_delay_alu instid0(VALU_DEP_1) | instskip(NEXT) | instid1(VALU_DEP_1)
	v_pk_mul_f32 v[22:23], v[16:17], v[18:19] op_sel:[1,1] op_sel_hi:[0,1]
	v_pk_fma_f32 v[24:25], v[16:17], s[20:21], v[22:23] op_sel_hi:[1,0,1]
	v_pk_fma_f32 v[16:17], v[16:17], v[18:19], v[22:23] neg_lo:[0,0,1] neg_hi:[0,0,1]
	s_delay_alu instid0(VALU_DEP_2) | instskip(NEXT) | instid1(VALU_DEP_1)
	v_mov_b32_e32 v17, v25
	v_pk_add_f32 v[14:15], v[14:15], v[16:17]
	s_branch .LBB6_2
.LBB6_36:
	s_endpgm
	.section	.rodata,"a",@progbits
	.p2align	6, 0x0
	.amdhsa_kernel _ZL20rocblas_gbmvt_kernelILi32ELi32E24rocblas_internal_val_ptrI19rocblas_complex_numIfEEPKPKS2_PKPS2_Evb18rocblas_operation_iiiiT1_T2_lllSD_lllSC_T3_llli
		.amdhsa_group_segment_fixed_size 0
		.amdhsa_private_segment_fixed_size 0
		.amdhsa_kernarg_size 140
		.amdhsa_user_sgpr_count 2
		.amdhsa_user_sgpr_dispatch_ptr 0
		.amdhsa_user_sgpr_queue_ptr 0
		.amdhsa_user_sgpr_kernarg_segment_ptr 1
		.amdhsa_user_sgpr_dispatch_id 0
		.amdhsa_user_sgpr_kernarg_preload_length 0
		.amdhsa_user_sgpr_kernarg_preload_offset 0
		.amdhsa_user_sgpr_private_segment_size 0
		.amdhsa_wavefront_size32 1
		.amdhsa_uses_dynamic_stack 0
		.amdhsa_enable_private_segment 0
		.amdhsa_system_sgpr_workgroup_id_x 1
		.amdhsa_system_sgpr_workgroup_id_y 0
		.amdhsa_system_sgpr_workgroup_id_z 1
		.amdhsa_system_sgpr_workgroup_info 0
		.amdhsa_system_vgpr_workitem_id 1
		.amdhsa_next_free_vgpr 26
		.amdhsa_next_free_sgpr 40
		.amdhsa_named_barrier_count 0
		.amdhsa_reserve_vcc 1
		.amdhsa_float_round_mode_32 0
		.amdhsa_float_round_mode_16_64 0
		.amdhsa_float_denorm_mode_32 3
		.amdhsa_float_denorm_mode_16_64 3
		.amdhsa_fp16_overflow 0
		.amdhsa_memory_ordered 1
		.amdhsa_forward_progress 1
		.amdhsa_inst_pref_size 12
		.amdhsa_round_robin_scheduling 0
		.amdhsa_exception_fp_ieee_invalid_op 0
		.amdhsa_exception_fp_denorm_src 0
		.amdhsa_exception_fp_ieee_div_zero 0
		.amdhsa_exception_fp_ieee_overflow 0
		.amdhsa_exception_fp_ieee_underflow 0
		.amdhsa_exception_fp_ieee_inexact 0
		.amdhsa_exception_int_div_zero 0
	.end_amdhsa_kernel
	.section	.text._ZL20rocblas_gbmvt_kernelILi32ELi32E24rocblas_internal_val_ptrI19rocblas_complex_numIfEEPKPKS2_PKPS2_Evb18rocblas_operation_iiiiT1_T2_lllSD_lllSC_T3_llli,"axG",@progbits,_ZL20rocblas_gbmvt_kernelILi32ELi32E24rocblas_internal_val_ptrI19rocblas_complex_numIfEEPKPKS2_PKPS2_Evb18rocblas_operation_iiiiT1_T2_lllSD_lllSC_T3_llli,comdat
.Lfunc_end6:
	.size	_ZL20rocblas_gbmvt_kernelILi32ELi32E24rocblas_internal_val_ptrI19rocblas_complex_numIfEEPKPKS2_PKPS2_Evb18rocblas_operation_iiiiT1_T2_lllSD_lllSC_T3_llli, .Lfunc_end6-_ZL20rocblas_gbmvt_kernelILi32ELi32E24rocblas_internal_val_ptrI19rocblas_complex_numIfEEPKPKS2_PKPS2_Evb18rocblas_operation_iiiiT1_T2_lllSD_lllSC_T3_llli
                                        ; -- End function
	.set _ZL20rocblas_gbmvt_kernelILi32ELi32E24rocblas_internal_val_ptrI19rocblas_complex_numIfEEPKPKS2_PKPS2_Evb18rocblas_operation_iiiiT1_T2_lllSD_lllSC_T3_llli.num_vgpr, 26
	.set _ZL20rocblas_gbmvt_kernelILi32ELi32E24rocblas_internal_val_ptrI19rocblas_complex_numIfEEPKPKS2_PKPS2_Evb18rocblas_operation_iiiiT1_T2_lllSD_lllSC_T3_llli.num_agpr, 0
	.set _ZL20rocblas_gbmvt_kernelILi32ELi32E24rocblas_internal_val_ptrI19rocblas_complex_numIfEEPKPKS2_PKPS2_Evb18rocblas_operation_iiiiT1_T2_lllSD_lllSC_T3_llli.numbered_sgpr, 40
	.set _ZL20rocblas_gbmvt_kernelILi32ELi32E24rocblas_internal_val_ptrI19rocblas_complex_numIfEEPKPKS2_PKPS2_Evb18rocblas_operation_iiiiT1_T2_lllSD_lllSC_T3_llli.num_named_barrier, 0
	.set _ZL20rocblas_gbmvt_kernelILi32ELi32E24rocblas_internal_val_ptrI19rocblas_complex_numIfEEPKPKS2_PKPS2_Evb18rocblas_operation_iiiiT1_T2_lllSD_lllSC_T3_llli.private_seg_size, 0
	.set _ZL20rocblas_gbmvt_kernelILi32ELi32E24rocblas_internal_val_ptrI19rocblas_complex_numIfEEPKPKS2_PKPS2_Evb18rocblas_operation_iiiiT1_T2_lllSD_lllSC_T3_llli.uses_vcc, 1
	.set _ZL20rocblas_gbmvt_kernelILi32ELi32E24rocblas_internal_val_ptrI19rocblas_complex_numIfEEPKPKS2_PKPS2_Evb18rocblas_operation_iiiiT1_T2_lllSD_lllSC_T3_llli.uses_flat_scratch, 0
	.set _ZL20rocblas_gbmvt_kernelILi32ELi32E24rocblas_internal_val_ptrI19rocblas_complex_numIfEEPKPKS2_PKPS2_Evb18rocblas_operation_iiiiT1_T2_lllSD_lllSC_T3_llli.has_dyn_sized_stack, 0
	.set _ZL20rocblas_gbmvt_kernelILi32ELi32E24rocblas_internal_val_ptrI19rocblas_complex_numIfEEPKPKS2_PKPS2_Evb18rocblas_operation_iiiiT1_T2_lllSD_lllSC_T3_llli.has_recursion, 0
	.set _ZL20rocblas_gbmvt_kernelILi32ELi32E24rocblas_internal_val_ptrI19rocblas_complex_numIfEEPKPKS2_PKPS2_Evb18rocblas_operation_iiiiT1_T2_lllSD_lllSC_T3_llli.has_indirect_call, 0
	.section	.AMDGPU.csdata,"",@progbits
; Kernel info:
; codeLenInByte = 1504
; TotalNumSgprs: 42
; NumVgprs: 26
; ScratchSize: 0
; MemoryBound: 0
; FloatMode: 240
; IeeeMode: 1
; LDSByteSize: 0 bytes/workgroup (compile time only)
; SGPRBlocks: 0
; VGPRBlocks: 1
; NumSGPRsForWavesPerEU: 42
; NumVGPRsForWavesPerEU: 26
; NamedBarCnt: 0
; Occupancy: 16
; WaveLimiterHint : 1
; COMPUTE_PGM_RSRC2:SCRATCH_EN: 0
; COMPUTE_PGM_RSRC2:USER_SGPR: 2
; COMPUTE_PGM_RSRC2:TRAP_HANDLER: 0
; COMPUTE_PGM_RSRC2:TGID_X_EN: 1
; COMPUTE_PGM_RSRC2:TGID_Y_EN: 0
; COMPUTE_PGM_RSRC2:TGID_Z_EN: 1
; COMPUTE_PGM_RSRC2:TIDIG_COMP_CNT: 1
	.section	.text._ZL20rocblas_gbmvt_kernelILi64ELi16E24rocblas_internal_val_ptrI19rocblas_complex_numIfEEPKPKS2_PKPS2_Evb18rocblas_operation_iiiiT1_T2_lllSD_lllSC_T3_llli,"axG",@progbits,_ZL20rocblas_gbmvt_kernelILi64ELi16E24rocblas_internal_val_ptrI19rocblas_complex_numIfEEPKPKS2_PKPS2_Evb18rocblas_operation_iiiiT1_T2_lllSD_lllSC_T3_llli,comdat
	.globl	_ZL20rocblas_gbmvt_kernelILi64ELi16E24rocblas_internal_val_ptrI19rocblas_complex_numIfEEPKPKS2_PKPS2_Evb18rocblas_operation_iiiiT1_T2_lllSD_lllSC_T3_llli ; -- Begin function _ZL20rocblas_gbmvt_kernelILi64ELi16E24rocblas_internal_val_ptrI19rocblas_complex_numIfEEPKPKS2_PKPS2_Evb18rocblas_operation_iiiiT1_T2_lllSD_lllSC_T3_llli
	.p2align	8
	.type	_ZL20rocblas_gbmvt_kernelILi64ELi16E24rocblas_internal_val_ptrI19rocblas_complex_numIfEEPKPKS2_PKPS2_Evb18rocblas_operation_iiiiT1_T2_lllSD_lllSC_T3_llli,@function
_ZL20rocblas_gbmvt_kernelILi64ELi16E24rocblas_internal_val_ptrI19rocblas_complex_numIfEEPKPKS2_PKPS2_Evb18rocblas_operation_iiiiT1_T2_lllSD_lllSC_T3_llli: ; @_ZL20rocblas_gbmvt_kernelILi64ELi16E24rocblas_internal_val_ptrI19rocblas_complex_numIfEEPKPKS2_PKPS2_Evb18rocblas_operation_iiiiT1_T2_lllSD_lllSC_T3_llli
; %bb.0:
	s_load_b32 s33, s[0:1], 0x88
	s_bfe_u32 s2, ttmp6, 0x40014
	s_lshr_b32 s3, ttmp7, 16
	s_add_co_i32 s2, s2, 1
	s_bfe_u32 s5, ttmp6, 0x40008
	s_mul_i32 s4, s3, s2
	s_getreg_b32 s2, hwreg(HW_REG_IB_STS2, 6, 4)
	s_add_co_i32 s5, s5, s4
	s_cmp_eq_u32 s2, 0
	s_mov_b32 s29, 0
	s_cselect_b32 s28, s3, s5
	s_wait_kmcnt 0x0
	s_cmp_ge_u32 s28, s33
	s_cbranch_scc1 .LBB7_36
; %bb.1:
	s_clause 0x2
	s_load_b128 s[20:23], s[0:1], 0x0
	s_load_b64 s[30:31], s[0:1], 0x10
	s_load_b256 s[4:11], s[0:1], 0x18
	v_bfe_u32 v1, v0, 10, 10
	v_and_b32_e32 v20, 0x3ff, v0
	s_load_b128 s[24:27], s[0:1], 0x40
	s_delay_alu instid0(VALU_DEP_1)
	v_dual_mov_b32 v7, 0 :: v_dual_lshlrev_b32 v6, 3, v20
	s_wait_kmcnt 0x0
	s_bitcmp1_b32 s20, 0
	s_cselect_b32 s3, -1, 0
	s_bfe_u32 s12, ttmp6, 0x4000c
	s_and_b32 s13, ttmp6, 15
	s_add_co_i32 s12, s12, 1
	s_xor_b32 s34, s3, -1
	s_mul_i32 s12, ttmp9, s12
	s_delay_alu instid0(SALU_CYCLE_1)
	s_add_co_i32 s13, s13, s12
	s_cmp_eq_u32 s2, 0
	s_load_b64 s[2:3], s[0:1], 0x50
	s_cselect_b32 s12, ttmp9, s13
	s_cmp_lg_u32 s21, 0x71
	v_lshl_add_u32 v2, s12, 4, v1
	v_sub_nc_u32_e32 v0, s31, v20
	s_load_b256 s[12:19], s[0:1], 0x60
	s_cselect_b32 s35, -1, 0
	s_add_co_i32 s30, s31, s30
	s_delay_alu instid0(VALU_DEP_1)
	v_dual_ashrrev_i32 v3, 31, v2 :: v_dual_ashrrev_i32 v1, 31, v0
	s_wait_xcnt 0x0
	v_cmp_eq_u32_e64 s0, 0, v20
	v_cmp_ge_i32_e64 s1, s30, v20
	s_lshl_b64 s[8:9], s[8:9], 3
	v_mul_u64_e32 v[10:11], s[10:11], v[2:3]
	v_sub_nc_u64_e32 v[4:5], v[2:3], v[0:1]
	v_mbcnt_lo_u32_b32 v1, -1, 0
	s_wait_kmcnt 0x0
	s_lshl_b64 s[10:11], s[2:3], 9
	s_delay_alu instid0(VALU_DEP_2)
	v_mul_u64_e32 v[8:9], s[2:3], v[4:5]
	v_cmp_gt_i32_e64 s2, s23, v2
	v_mul_u64_e32 v[4:5], s[18:19], v[2:3]
	s_lshl_b64 s[18:19], s[26:27], 3
	s_lshl_b64 s[16:17], s[16:17], 3
	v_lshl_add_u64 v[10:11], v[10:11], 3, v[6:7]
	s_delay_alu instid0(VALU_DEP_1) | instskip(SKIP_1) | instid1(VALU_DEP_1)
	v_or_b32_e32 v10, 4, v10
	v_lshlrev_b64_e32 v[8:9], 3, v[8:9]
	v_or_b32_e32 v8, 4, v8
	s_branch .LBB7_5
.LBB7_2:                                ;   in Loop: Header=BB7_5 Depth=1
	flat_store_b64 v[12:13], v[14:15]
.LBB7_3:                                ;   in Loop: Header=BB7_5 Depth=1
	s_wait_xcnt 0x0
	s_or_b32 exec_lo, exec_lo, s23
.LBB7_4:                                ;   in Loop: Header=BB7_5 Depth=1
	s_add_co_i32 s28, s28, 0x10000
	s_delay_alu instid0(SALU_CYCLE_1)
	s_cmp_lt_u32 s28, s33
	s_cbranch_scc0 .LBB7_36
.LBB7_5:                                ; =>This Loop Header: Depth=1
                                        ;     Child Loop BB7_25 Depth 2
	s_and_not1_b32 vcc_lo, exec_lo, s34
	s_mov_b64 s[26:27], s[4:5]
	s_cbranch_vccnz .LBB7_7
; %bb.6:                                ;   in Loop: Header=BB7_5 Depth=1
	s_wait_loadcnt 0x0
	global_load_b64 v[12:13], v7, s[4:5]
	s_wait_loadcnt 0x0
	v_readfirstlane_b32 s26, v12
	v_readfirstlane_b32 s27, v13
.LBB7_7:                                ;   in Loop: Header=BB7_5 Depth=1
	s_and_not1_b32 vcc_lo, exec_lo, s34
	s_mov_b64 s[20:21], s[12:13]
	s_cbranch_vccnz .LBB7_9
; %bb.8:                                ;   in Loop: Header=BB7_5 Depth=1
	s_wait_loadcnt 0x0
	global_load_b64 v[12:13], v7, s[12:13]
	s_wait_loadcnt 0x0
	v_readfirstlane_b32 s20, v12
	v_readfirstlane_b32 s21, v13
.LBB7_9:                                ;   in Loop: Header=BB7_5 Depth=1
	s_delay_alu instid0(VALU_DEP_1) | instskip(SKIP_2) | instid1(SALU_CYCLE_1)
	s_or_b32 s3, s26, s27
	s_mov_b32 s36, -1
	s_and_b32 s23, s3, 0x7fffffff
	s_cmp_lg_u32 s23, 0
	s_cselect_b32 s3, -1, 0
	s_cmp_eq_u32 s23, 0
	s_cselect_b32 s23, -1, 0
	s_and_b32 vcc_lo, exec_lo, s3
	s_cbranch_vccz .LBB7_11
; %bb.10:                               ;   in Loop: Header=BB7_5 Depth=1
	s_and_not1_b32 vcc_lo, exec_lo, s36
	s_cbranch_vccnz .LBB7_4
	s_branch .LBB7_12
.LBB7_11:                               ;   in Loop: Header=BB7_5 Depth=1
	s_cmp_neq_f32 s20, 1.0
	s_cselect_b32 s36, -1, 0
	s_and_b32 s37, s21, 0x7fffffff
	s_delay_alu instid0(SALU_CYCLE_1) | instskip(SKIP_1) | instid1(SALU_CYCLE_1)
	s_cmp_lg_u32 s37, 0
	s_cselect_b32 s37, -1, 0
	s_or_b32 s36, s36, s37
	s_delay_alu instid0(SALU_CYCLE_1)
	s_and_not1_b32 vcc_lo, exec_lo, s36
	s_cbranch_vccnz .LBB7_4
.LBB7_12:                               ;   in Loop: Header=BB7_5 Depth=1
	s_and_not1_b32 vcc_lo, exec_lo, s23
	s_cbranch_vccnz .LBB7_14
; %bb.13:                               ;   in Loop: Header=BB7_5 Depth=1
	v_mov_b64_e32 v[16:17], 0
	v_mov_b64_e32 v[14:15], 0
	s_cbranch_execz .LBB7_15
	s_branch .LBB7_16
.LBB7_14:                               ;   in Loop: Header=BB7_5 Depth=1
	v_mov_b64_e32 v[16:17], 0
	v_mov_b64_e32 v[14:15], 0
.LBB7_15:                               ;   in Loop: Header=BB7_5 Depth=1
	s_lshl_b64 s[36:37], s[28:29], 3
	s_delay_alu instid0(SALU_CYCLE_1)
	s_add_nc_u64 s[36:37], s[6:7], s[36:37]
	s_wait_loadcnt 0x0
	global_load_b64 v[12:13], v7, s[36:37]
	s_wait_loadcnt 0x0
	v_add_nc_u64_e32 v[14:15], s[8:9], v[12:13]
.LBB7_16:                               ;   in Loop: Header=BB7_5 Depth=1
	s_and_not1_b32 vcc_lo, exec_lo, s3
	s_cbranch_vccz .LBB7_18
; %bb.17:                               ;   in Loop: Header=BB7_5 Depth=1
	s_wait_xcnt 0x0
	s_and_saveexec_b32 s23, s2
	s_cbranch_execz .LBB7_3
	s_branch .LBB7_19
.LBB7_18:                               ;   in Loop: Header=BB7_5 Depth=1
	s_wait_xcnt 0x0
	s_lshl_b64 s[36:37], s[28:29], 3
	s_delay_alu instid0(SALU_CYCLE_1)
	s_add_nc_u64 s[36:37], s[24:25], s[36:37]
	s_wait_loadcnt 0x0
	global_load_b64 v[12:13], v7, s[36:37]
	s_wait_loadcnt 0x0
	v_add_nc_u64_e32 v[16:17], s[18:19], v[12:13]
	s_wait_xcnt 0x0
	s_and_saveexec_b32 s23, s2
	s_cbranch_execz .LBB7_3
.LBB7_19:                               ;   in Loop: Header=BB7_5 Depth=1
	s_lshl_b64 s[36:37], s[28:29], 3
	s_cmp_neq_f32 s26, 0
	s_add_nc_u64 s[36:37], s[14:15], s[36:37]
	s_wait_loadcnt 0x0
	global_load_b64 v[12:13], v7, s[36:37]
	s_cselect_b32 s3, -1, 0
	s_cmp_neq_f32 s27, 0
	s_wait_xcnt 0x0
	s_cselect_b32 s36, -1, 0
	s_delay_alu instid0(SALU_CYCLE_1) | instskip(NEXT) | instid1(SALU_CYCLE_1)
	s_or_b32 s3, s3, s36
	s_and_not1_b32 vcc_lo, exec_lo, s3
	s_cbranch_vccnz .LBB7_31
; %bb.20:                               ;   in Loop: Header=BB7_5 Depth=1
	v_dual_mov_b32 v3, 0 :: v_dual_mov_b32 v6, 0
	s_and_saveexec_b32 s36, s1
	s_cbranch_execz .LBB7_33
; %bb.21:                               ;   in Loop: Header=BB7_5 Depth=1
	v_add_nc_u64_e32 v[14:15], v[14:15], v[10:11]
	v_add_nc_u64_e32 v[16:17], v[16:17], v[8:9]
	v_dual_mov_b32 v3, 0 :: v_dual_mov_b32 v21, v0
	v_dual_mov_b32 v22, v20 :: v_dual_mov_b32 v6, 0
	s_mov_b32 s37, 0
	s_branch .LBB7_25
.LBB7_22:                               ;   in Loop: Header=BB7_25 Depth=2
	flat_load_b64 v[24:25], v[16:17] offset:-4
	s_wait_loadcnt_dscnt 0x0
	v_dual_mul_f32 v23, v19, v25 :: v_dual_mul_f32 v25, v25, v18
	s_delay_alu instid0(VALU_DEP_1) | instskip(NEXT) | instid1(VALU_DEP_1)
	v_dual_fma_f32 v18, v24, v18, -v23 :: v_dual_fmac_f32 v25, v19, v24
	v_dual_add_f32 v6, v6, v18 :: v_dual_add_f32 v3, v3, v25
.LBB7_23:                               ;   in Loop: Header=BB7_25 Depth=2
	s_wait_xcnt 0x0
	s_or_b32 exec_lo, exec_lo, s3
.LBB7_24:                               ;   in Loop: Header=BB7_25 Depth=2
	s_delay_alu instid0(SALU_CYCLE_1) | instskip(SKIP_4) | instid1(VALU_DEP_4)
	s_or_b32 exec_lo, exec_lo, s38
	v_add_nc_u32_e32 v22, 64, v22
	v_add_nc_u64_e32 v[14:15], 0x200, v[14:15]
	v_add_nc_u64_e32 v[16:17], s[10:11], v[16:17]
	v_subrev_nc_u32_e32 v21, 64, v21
	v_cmp_lt_i32_e32 vcc_lo, s30, v22
	s_or_b32 s37, vcc_lo, s37
	s_delay_alu instid0(SALU_CYCLE_1)
	s_and_not1_b32 exec_lo, exec_lo, s37
	s_cbranch_execz .LBB7_32
.LBB7_25:                               ;   Parent Loop BB7_5 Depth=1
                                        ; =>  This Inner Loop Header: Depth=2
	s_delay_alu instid0(VALU_DEP_2) | instskip(SKIP_1) | instid1(VALU_DEP_1)
	v_add_nc_u32_e32 v18, s22, v21
	s_mov_b32 s38, exec_lo
	v_cmpx_lt_i32_e64 v2, v18
	s_cbranch_execz .LBB7_24
; %bb.26:                               ;   in Loop: Header=BB7_25 Depth=2
	v_cmp_lt_i32_e32 vcc_lo, s31, v22
	v_cmp_ge_i32_e64 s3, v2, v21
	s_or_b32 s39, vcc_lo, s3
	s_delay_alu instid0(SALU_CYCLE_1)
	s_and_saveexec_b32 s3, s39
	s_cbranch_execz .LBB7_23
; %bb.27:                               ;   in Loop: Header=BB7_25 Depth=2
	s_and_b32 vcc_lo, exec_lo, s35
	s_mov_b32 s39, -1
                                        ; implicit-def: $vgpr19
	s_cbranch_vccz .LBB7_29
; %bb.28:                               ;   in Loop: Header=BB7_25 Depth=2
	flat_load_b64 v[18:19], v[14:15] offset:-4
	s_mov_b32 s39, 0
.LBB7_29:                               ;   in Loop: Header=BB7_25 Depth=2
	s_delay_alu instid0(SALU_CYCLE_1)
	s_and_not1_b32 vcc_lo, exec_lo, s39
	s_cbranch_vccnz .LBB7_22
; %bb.30:                               ;   in Loop: Header=BB7_25 Depth=2
	s_wait_loadcnt_dscnt 0x0
	flat_load_b64 v[18:19], v[14:15] offset:-4
	s_wait_loadcnt_dscnt 0x0
	v_xor_b32_e32 v19, 0x80000000, v19
	s_branch .LBB7_22
.LBB7_31:                               ;   in Loop: Header=BB7_5 Depth=1
	v_mov_b64_e32 v[14:15], 0
	s_and_b32 exec_lo, exec_lo, s0
	s_cbranch_execz .LBB7_3
	s_branch .LBB7_34
.LBB7_32:                               ;   in Loop: Header=BB7_5 Depth=1
	s_or_b32 exec_lo, exec_lo, s37
.LBB7_33:                               ;   in Loop: Header=BB7_5 Depth=1
	s_delay_alu instid0(SALU_CYCLE_1)
	s_or_b32 exec_lo, exec_lo, s36
	v_lshlrev_b32_e32 v14, 2, v1
	v_cmp_gt_u32_e32 vcc_lo, 24, v1
	s_wait_loadcnt 0x0
	s_barrier_signal -1
	s_barrier_wait -1
	ds_bpermute_b32 v15, v14, v3
	s_wait_dscnt 0x0
	v_add_f32_e32 v3, v3, v15
	ds_bpermute_b32 v16, v14, v6
	s_wait_dscnt 0x0
	v_dual_add_f32 v6, v6, v16 :: v_dual_bitop2_b32 v14, 64, v14 bitop3:0x54
	ds_bpermute_b32 v15, v14, v3
	v_cndmask_b32_e64 v16, 0, 8, vcc_lo
	v_cmp_gt_u32_e32 vcc_lo, 28, v1
	ds_bpermute_b32 v14, v14, v6
	v_add_lshl_u32 v16, v16, v1, 2
	s_wait_dscnt 0x0
	v_dual_add_f32 v3, v3, v15 :: v_dual_add_f32 v6, v6, v14
	ds_bpermute_b32 v14, v16, v3
	ds_bpermute_b32 v15, v16, v6
	v_cndmask_b32_e64 v16, 0, 4, vcc_lo
	v_cmp_gt_u32_e32 vcc_lo, 30, v1
	s_delay_alu instid0(VALU_DEP_2)
	v_add_lshl_u32 v16, v16, v1, 2
	s_wait_dscnt 0x0
	v_dual_add_f32 v3, v3, v14 :: v_dual_add_f32 v6, v6, v15
	ds_bpermute_b32 v14, v16, v3
	ds_bpermute_b32 v15, v16, v6
	v_cndmask_b32_e64 v16, 0, 2, vcc_lo
	v_cmp_ne_u32_e32 vcc_lo, 31, v1
	s_delay_alu instid0(VALU_DEP_2)
	v_add_lshl_u32 v16, v16, v1, 2
	s_wait_dscnt 0x0
	v_dual_add_f32 v3, v3, v14 :: v_dual_add_f32 v6, v6, v15
	ds_bpermute_b32 v14, v16, v3
	ds_bpermute_b32 v15, v16, v6
	v_add_co_ci_u32_e64 v16, null, 0, v1, vcc_lo
	s_wait_dscnt 0x1
	s_delay_alu instid0(VALU_DEP_1)
	v_dual_add_f32 v3, v3, v14 :: v_dual_lshlrev_b32 v16, 2, v16
	s_wait_dscnt 0x0
	v_add_f32_e32 v17, v6, v15
	ds_bpermute_b32 v6, v16, v3
	v_mov_b64_e32 v[14:15], s[26:27]
	s_wait_dscnt 0x0
	v_add_f32_e32 v6, v3, v6
	ds_bpermute_b32 v16, v16, v17
	v_pk_mul_f32 v[18:19], v[6:7], v[14:15] op_sel:[0,1] op_sel_hi:[0,0]
	s_wait_dscnt 0x0
	v_add_f32_e32 v16, v17, v16
	s_delay_alu instid0(VALU_DEP_1) | instskip(SKIP_1) | instid1(VALU_DEP_2)
	v_pk_fma_f32 v[22:23], v[16:17], v[14:15], v[18:19] op_sel_hi:[0,1,1]
	v_pk_fma_f32 v[14:15], v[16:17], v[14:15], v[18:19] neg_lo:[0,0,1] neg_hi:[0,0,1]
	v_mov_b32_e32 v15, v23
	s_and_b32 exec_lo, exec_lo, s0
	s_cbranch_execz .LBB7_3
.LBB7_34:                               ;   in Loop: Header=BB7_5 Depth=1
	s_wait_loadcnt 0x0
	v_add_nc_u64_e32 v[12:13], s[16:17], v[12:13]
	s_or_b32 s3, s20, s21
	s_delay_alu instid0(SALU_CYCLE_1) | instskip(NEXT) | instid1(SALU_CYCLE_1)
	s_bitset0_b32 s3, 31
	s_cmp_eq_u32 s3, 0
	s_delay_alu instid0(VALU_DEP_1)
	v_lshl_add_u64 v[12:13], v[4:5], 3, v[12:13]
	s_cbranch_scc1 .LBB7_2
; %bb.35:                               ;   in Loop: Header=BB7_5 Depth=1
	flat_load_b64 v[16:17], v[12:13]
	v_mov_b64_e32 v[18:19], s[20:21]
	s_wait_loadcnt_dscnt 0x0
	s_delay_alu instid0(VALU_DEP_1) | instskip(NEXT) | instid1(VALU_DEP_1)
	v_pk_mul_f32 v[22:23], v[16:17], v[18:19] op_sel:[1,1] op_sel_hi:[0,1]
	v_pk_fma_f32 v[24:25], v[16:17], s[20:21], v[22:23] op_sel_hi:[1,0,1]
	v_pk_fma_f32 v[16:17], v[16:17], v[18:19], v[22:23] neg_lo:[0,0,1] neg_hi:[0,0,1]
	s_delay_alu instid0(VALU_DEP_2) | instskip(NEXT) | instid1(VALU_DEP_1)
	v_mov_b32_e32 v17, v25
	v_pk_add_f32 v[14:15], v[14:15], v[16:17]
	s_branch .LBB7_2
.LBB7_36:
	s_endpgm
	.section	.rodata,"a",@progbits
	.p2align	6, 0x0
	.amdhsa_kernel _ZL20rocblas_gbmvt_kernelILi64ELi16E24rocblas_internal_val_ptrI19rocblas_complex_numIfEEPKPKS2_PKPS2_Evb18rocblas_operation_iiiiT1_T2_lllSD_lllSC_T3_llli
		.amdhsa_group_segment_fixed_size 0
		.amdhsa_private_segment_fixed_size 0
		.amdhsa_kernarg_size 140
		.amdhsa_user_sgpr_count 2
		.amdhsa_user_sgpr_dispatch_ptr 0
		.amdhsa_user_sgpr_queue_ptr 0
		.amdhsa_user_sgpr_kernarg_segment_ptr 1
		.amdhsa_user_sgpr_dispatch_id 0
		.amdhsa_user_sgpr_kernarg_preload_length 0
		.amdhsa_user_sgpr_kernarg_preload_offset 0
		.amdhsa_user_sgpr_private_segment_size 0
		.amdhsa_wavefront_size32 1
		.amdhsa_uses_dynamic_stack 0
		.amdhsa_enable_private_segment 0
		.amdhsa_system_sgpr_workgroup_id_x 1
		.amdhsa_system_sgpr_workgroup_id_y 0
		.amdhsa_system_sgpr_workgroup_id_z 1
		.amdhsa_system_sgpr_workgroup_info 0
		.amdhsa_system_vgpr_workitem_id 1
		.amdhsa_next_free_vgpr 26
		.amdhsa_next_free_sgpr 40
		.amdhsa_named_barrier_count 0
		.amdhsa_reserve_vcc 1
		.amdhsa_float_round_mode_32 0
		.amdhsa_float_round_mode_16_64 0
		.amdhsa_float_denorm_mode_32 3
		.amdhsa_float_denorm_mode_16_64 3
		.amdhsa_fp16_overflow 0
		.amdhsa_memory_ordered 1
		.amdhsa_forward_progress 1
		.amdhsa_inst_pref_size 12
		.amdhsa_round_robin_scheduling 0
		.amdhsa_exception_fp_ieee_invalid_op 0
		.amdhsa_exception_fp_denorm_src 0
		.amdhsa_exception_fp_ieee_div_zero 0
		.amdhsa_exception_fp_ieee_overflow 0
		.amdhsa_exception_fp_ieee_underflow 0
		.amdhsa_exception_fp_ieee_inexact 0
		.amdhsa_exception_int_div_zero 0
	.end_amdhsa_kernel
	.section	.text._ZL20rocblas_gbmvt_kernelILi64ELi16E24rocblas_internal_val_ptrI19rocblas_complex_numIfEEPKPKS2_PKPS2_Evb18rocblas_operation_iiiiT1_T2_lllSD_lllSC_T3_llli,"axG",@progbits,_ZL20rocblas_gbmvt_kernelILi64ELi16E24rocblas_internal_val_ptrI19rocblas_complex_numIfEEPKPKS2_PKPS2_Evb18rocblas_operation_iiiiT1_T2_lllSD_lllSC_T3_llli,comdat
.Lfunc_end7:
	.size	_ZL20rocblas_gbmvt_kernelILi64ELi16E24rocblas_internal_val_ptrI19rocblas_complex_numIfEEPKPKS2_PKPS2_Evb18rocblas_operation_iiiiT1_T2_lllSD_lllSC_T3_llli, .Lfunc_end7-_ZL20rocblas_gbmvt_kernelILi64ELi16E24rocblas_internal_val_ptrI19rocblas_complex_numIfEEPKPKS2_PKPS2_Evb18rocblas_operation_iiiiT1_T2_lllSD_lllSC_T3_llli
                                        ; -- End function
	.set _ZL20rocblas_gbmvt_kernelILi64ELi16E24rocblas_internal_val_ptrI19rocblas_complex_numIfEEPKPKS2_PKPS2_Evb18rocblas_operation_iiiiT1_T2_lllSD_lllSC_T3_llli.num_vgpr, 26
	.set _ZL20rocblas_gbmvt_kernelILi64ELi16E24rocblas_internal_val_ptrI19rocblas_complex_numIfEEPKPKS2_PKPS2_Evb18rocblas_operation_iiiiT1_T2_lllSD_lllSC_T3_llli.num_agpr, 0
	.set _ZL20rocblas_gbmvt_kernelILi64ELi16E24rocblas_internal_val_ptrI19rocblas_complex_numIfEEPKPKS2_PKPS2_Evb18rocblas_operation_iiiiT1_T2_lllSD_lllSC_T3_llli.numbered_sgpr, 40
	.set _ZL20rocblas_gbmvt_kernelILi64ELi16E24rocblas_internal_val_ptrI19rocblas_complex_numIfEEPKPKS2_PKPS2_Evb18rocblas_operation_iiiiT1_T2_lllSD_lllSC_T3_llli.num_named_barrier, 0
	.set _ZL20rocblas_gbmvt_kernelILi64ELi16E24rocblas_internal_val_ptrI19rocblas_complex_numIfEEPKPKS2_PKPS2_Evb18rocblas_operation_iiiiT1_T2_lllSD_lllSC_T3_llli.private_seg_size, 0
	.set _ZL20rocblas_gbmvt_kernelILi64ELi16E24rocblas_internal_val_ptrI19rocblas_complex_numIfEEPKPKS2_PKPS2_Evb18rocblas_operation_iiiiT1_T2_lllSD_lllSC_T3_llli.uses_vcc, 1
	.set _ZL20rocblas_gbmvt_kernelILi64ELi16E24rocblas_internal_val_ptrI19rocblas_complex_numIfEEPKPKS2_PKPS2_Evb18rocblas_operation_iiiiT1_T2_lllSD_lllSC_T3_llli.uses_flat_scratch, 0
	.set _ZL20rocblas_gbmvt_kernelILi64ELi16E24rocblas_internal_val_ptrI19rocblas_complex_numIfEEPKPKS2_PKPS2_Evb18rocblas_operation_iiiiT1_T2_lllSD_lllSC_T3_llli.has_dyn_sized_stack, 0
	.set _ZL20rocblas_gbmvt_kernelILi64ELi16E24rocblas_internal_val_ptrI19rocblas_complex_numIfEEPKPKS2_PKPS2_Evb18rocblas_operation_iiiiT1_T2_lllSD_lllSC_T3_llli.has_recursion, 0
	.set _ZL20rocblas_gbmvt_kernelILi64ELi16E24rocblas_internal_val_ptrI19rocblas_complex_numIfEEPKPKS2_PKPS2_Evb18rocblas_operation_iiiiT1_T2_lllSD_lllSC_T3_llli.has_indirect_call, 0
	.section	.AMDGPU.csdata,"",@progbits
; Kernel info:
; codeLenInByte = 1536
; TotalNumSgprs: 42
; NumVgprs: 26
; ScratchSize: 0
; MemoryBound: 0
; FloatMode: 240
; IeeeMode: 1
; LDSByteSize: 0 bytes/workgroup (compile time only)
; SGPRBlocks: 0
; VGPRBlocks: 1
; NumSGPRsForWavesPerEU: 42
; NumVGPRsForWavesPerEU: 26
; NamedBarCnt: 0
; Occupancy: 16
; WaveLimiterHint : 1
; COMPUTE_PGM_RSRC2:SCRATCH_EN: 0
; COMPUTE_PGM_RSRC2:USER_SGPR: 2
; COMPUTE_PGM_RSRC2:TRAP_HANDLER: 0
; COMPUTE_PGM_RSRC2:TGID_X_EN: 1
; COMPUTE_PGM_RSRC2:TGID_Y_EN: 0
; COMPUTE_PGM_RSRC2:TGID_Z_EN: 1
; COMPUTE_PGM_RSRC2:TIDIG_COMP_CNT: 1
	.section	.text._ZL20rocblas_gbmvn_kernelILi32ELi32E24rocblas_internal_val_ptrI19rocblas_complex_numIdEEPKPKS2_PKPS2_EvbiiiiT1_T2_lllSC_lllSB_T3_llli,"axG",@progbits,_ZL20rocblas_gbmvn_kernelILi32ELi32E24rocblas_internal_val_ptrI19rocblas_complex_numIdEEPKPKS2_PKPS2_EvbiiiiT1_T2_lllSC_lllSB_T3_llli,comdat
	.globl	_ZL20rocblas_gbmvn_kernelILi32ELi32E24rocblas_internal_val_ptrI19rocblas_complex_numIdEEPKPKS2_PKPS2_EvbiiiiT1_T2_lllSC_lllSB_T3_llli ; -- Begin function _ZL20rocblas_gbmvn_kernelILi32ELi32E24rocblas_internal_val_ptrI19rocblas_complex_numIdEEPKPKS2_PKPS2_EvbiiiiT1_T2_lllSC_lllSB_T3_llli
	.p2align	8
	.type	_ZL20rocblas_gbmvn_kernelILi32ELi32E24rocblas_internal_val_ptrI19rocblas_complex_numIdEEPKPKS2_PKPS2_EvbiiiiT1_T2_lllSC_lllSB_T3_llli,@function
_ZL20rocblas_gbmvn_kernelILi32ELi32E24rocblas_internal_val_ptrI19rocblas_complex_numIdEEPKPKS2_PKPS2_EvbiiiiT1_T2_lllSC_lllSB_T3_llli: ; @_ZL20rocblas_gbmvn_kernelILi32ELi32E24rocblas_internal_val_ptrI19rocblas_complex_numIdEEPKPKS2_PKPS2_EvbiiiiT1_T2_lllSC_lllSB_T3_llli
; %bb.0:
	s_load_b32 s33, s[0:1], 0x98
	s_bfe_u32 s2, ttmp6, 0x40014
	s_lshr_b32 s3, ttmp7, 16
	s_add_co_i32 s2, s2, 1
	s_bfe_u32 s5, ttmp6, 0x40008
	s_mul_i32 s4, s3, s2
	s_getreg_b32 s2, hwreg(HW_REG_IB_STS2, 6, 4)
	s_add_co_i32 s5, s5, s4
	s_cmp_eq_u32 s2, 0
	s_mov_b32 s29, 0
	s_cselect_b32 s28, s3, s5
	s_wait_kmcnt 0x0
	s_cmp_ge_u32 s28, s33
	s_cbranch_scc1 .LBB8_30
; %bb.1:
	s_clause 0x1
	s_load_b128 s[20:23], s[0:1], 0x0
	s_load_b32 s37, s[0:1], 0x10
	v_bfe_u32 v1, v0, 10, 10
	s_clause 0x1
	s_load_b64 s[30:31], s[0:1], 0x38
	s_load_b128 s[24:27], s[0:1], 0x48
	v_and_b32_e32 v8, 0x3ff, v0
	s_load_b256 s[12:19], s[0:1], 0x68
	s_mov_b64 s[34:35], 0xfffffffffffffe00
	s_wait_kmcnt 0x0
	s_bitcmp1_b32 s20, 0
	s_cselect_b32 s3, -1, 0
	s_bfe_u32 s4, ttmp6, 0x4000c
	s_and_b32 s5, ttmp6, 15
	s_add_co_i32 s4, s4, 1
	s_xor_b32 s36, s3, -1
	s_mul_i32 s4, ttmp9, s4
	s_delay_alu instid0(SALU_CYCLE_1)
	s_add_co_i32 s5, s5, s4
	s_cmp_eq_u32 s2, 0
	s_cselect_b32 s2, ttmp9, s5
	s_load_b64 s[4:5], s[0:1], 0x88
	v_lshl_add_u32 v2, s2, 5, v1
	s_load_b64 s[2:3], s[0:1], 0x58
	s_lshl_b64 s[38:39], s[30:31], 9
	s_lshl_b64 s[18:19], s[18:19], 4
	s_add_nc_u64 s[34:35], s[38:39], s[34:35]
	v_subrev_nc_u32_e32 v1, s23, v2
	v_dual_ashrrev_i32 v3, 31, v2 :: v_dual_min_i32 v6, s23, v2
	s_delay_alu instid0(VALU_DEP_2) | instskip(NEXT) | instid1(VALU_DEP_1)
	v_max_i32_e32 v0, 0, v1
	v_add_nc_u32_e32 v12, v0, v8
	s_wait_kmcnt 0x0
	s_delay_alu instid0(VALU_DEP_3) | instskip(NEXT) | instid1(VALU_DEP_2)
	v_mul_u64_e32 v[14:15], s[4:5], v[2:3]
	v_ashrrev_i32_e32 v13, 31, v12
	v_dual_sub_nc_u32 v3, s37, v8 :: v_dual_mov_b32 v17, 0
	s_load_b256 s[4:11], s[0:1], 0x18
	s_wait_xcnt 0x0
	v_cmp_eq_u32_e64 s0, 0, v8
	v_mul_u64_e32 v[4:5], s[30:31], v[12:13]
	v_mul_u64_e32 v[0:1], s[2:3], v[12:13]
	v_dual_add_nc_u32 v16, v3, v6 :: v_dual_add_nc_u32 v3, s37, v6
	s_lshl_b64 s[30:31], s[2:3], 9
	v_cmp_gt_i32_e64 s1, s21, v2
	s_lshl_b64 s[20:21], s[26:27], 4
	v_lshlrev_b64_e32 v[6:7], 4, v[16:17]
	v_cmp_lt_i32_e64 s2, -1, v16
	v_mbcnt_lo_u32_b32 v16, -1, 0
	s_wait_kmcnt 0x0
	s_lshl_b64 s[10:11], s[10:11], 4
	v_lshl_add_u64 v[20:21], v[4:5], 4, v[6:7]
	v_lshlrev_b64_e32 v[18:19], 4, v[0:1]
	s_delay_alu instid0(VALU_DEP_2) | instskip(NEXT) | instid1(VALU_DEP_2)
	v_or_b32_e32 v20, 8, v20
	v_dual_sub_nc_u32 v3, v3, v8 :: v_dual_bitop2_b32 v18, 8, v18 bitop3:0x54
	s_delay_alu instid0(VALU_DEP_1)
	v_add_nc_u32_e32 v13, 32, v3
	s_branch .LBB8_5
.LBB8_2:                                ;   in Loop: Header=BB8_5 Depth=1
	flat_store_b128 v[4:5], v[8:11]
.LBB8_3:                                ;   in Loop: Header=BB8_5 Depth=1
	s_wait_xcnt 0x0
	s_or_b32 exec_lo, exec_lo, s23
.LBB8_4:                                ;   in Loop: Header=BB8_5 Depth=1
	s_add_co_i32 s28, s28, 0x10000
	s_delay_alu instid0(SALU_CYCLE_1)
	s_cmp_lt_u32 s28, s33
	s_cbranch_scc0 .LBB8_30
.LBB8_5:                                ; =>This Loop Header: Depth=1
                                        ;     Child Loop BB8_23 Depth 2
	v_mov_b64_e32 v[6:7], s[6:7]
	v_mov_b64_e32 v[4:5], s[4:5]
	s_and_not1_b32 vcc_lo, exec_lo, s36
	s_cbranch_vccnz .LBB8_7
; %bb.6:                                ;   in Loop: Header=BB8_5 Depth=1
	global_load_b128 v[4:7], v17, s[4:5]
.LBB8_7:                                ;   in Loop: Header=BB8_5 Depth=1
	v_mov_b64_e32 v[2:3], s[14:15]
	v_mov_b64_e32 v[0:1], s[12:13]
	s_and_not1_b32 vcc_lo, exec_lo, s36
	s_cbranch_vccnz .LBB8_9
; %bb.8:                                ;   in Loop: Header=BB8_5 Depth=1
	global_load_b128 v[0:3], v17, s[12:13]
.LBB8_9:                                ;   in Loop: Header=BB8_5 Depth=1
	s_wait_loadcnt 0x0
	v_cmp_neq_f64_e32 vcc_lo, 0, v[4:5]
	v_cmp_neq_f64_e64 s3, 0, v[6:7]
	s_or_b32 s23, vcc_lo, s3
	s_delay_alu instid0(SALU_CYCLE_1)
	s_and_b32 vcc_lo, exec_lo, s23
	s_cbranch_vccnz .LBB8_12
; %bb.10:                               ;   in Loop: Header=BB8_5 Depth=1
	v_cmp_eq_f64_e32 vcc_lo, 1.0, v[0:1]
	v_cmp_eq_f64_e64 s3, 0, v[2:3]
	s_wait_xcnt 0x0
	s_mov_b32 s26, 0
	s_and_b32 s3, vcc_lo, s3
	s_delay_alu instid0(SALU_CYCLE_1)
	s_and_not1_b32 vcc_lo, exec_lo, s3
	s_mov_b32 s3, 0
	s_cbranch_vccz .LBB8_13
; %bb.11:                               ;   in Loop: Header=BB8_5 Depth=1
	s_mov_b32 s3, -1
	s_branch .LBB8_13
.LBB8_12:                               ;   in Loop: Header=BB8_5 Depth=1
	s_wait_xcnt 0x0
	s_mov_b32 s26, -1
	s_mov_b32 s3, 0
.LBB8_13:                               ;   in Loop: Header=BB8_5 Depth=1
	v_mov_b64_e32 v[24:25], 0
	s_and_b32 vcc_lo, exec_lo, s26
	s_cbranch_vccnz .LBB8_15
; %bb.14:                               ;   in Loop: Header=BB8_5 Depth=1
	s_and_not1_b32 vcc_lo, exec_lo, s3
	s_cbranch_vccnz .LBB8_4
	s_branch .LBB8_16
.LBB8_15:                               ;   in Loop: Header=BB8_5 Depth=1
	s_lshl_b64 s[26:27], s[28:29], 3
	s_delay_alu instid0(SALU_CYCLE_1)
	s_add_nc_u64 s[26:27], s[8:9], s[26:27]
	global_load_b64 v[8:9], v17, s[26:27]
	s_wait_loadcnt 0x0
	v_add_nc_u64_e32 v[24:25], s[10:11], v[8:9]
.LBB8_16:                               ;   in Loop: Header=BB8_5 Depth=1
	v_mov_b64_e32 v[26:27], 0
	v_cndmask_b32_e64 v8, 0, 1, s23
	s_and_not1_b32 vcc_lo, exec_lo, s23
	s_cbranch_vccnz .LBB8_18
; %bb.17:                               ;   in Loop: Header=BB8_5 Depth=1
	s_wait_xcnt 0x0
	s_lshl_b64 s[26:27], s[28:29], 3
	s_delay_alu instid0(SALU_CYCLE_1)
	s_add_nc_u64 s[26:27], s[24:25], s[26:27]
	global_load_b64 v[10:11], v17, s[26:27]
	s_wait_loadcnt 0x0
	v_add_nc_u64_e32 v[26:27], s[20:21], v[10:11]
.LBB8_18:                               ;   in Loop: Header=BB8_5 Depth=1
	s_wait_xcnt 0x0
	s_and_saveexec_b32 s23, s1
	s_cbranch_execz .LBB8_3
; %bb.19:                               ;   in Loop: Header=BB8_5 Depth=1
	s_lshl_b64 s[26:27], s[28:29], 3
	v_mov_b64_e32 v[10:11], 0
	s_add_nc_u64 s[26:27], s[16:17], s[26:27]
	v_cmp_ne_u32_e32 vcc_lo, 1, v8
	global_load_b64 v[22:23], v17, s[26:27]
	v_mov_b64_e32 v[8:9], 0
	s_cbranch_vccnz .LBB8_27
; %bb.20:                               ;   in Loop: Header=BB8_5 Depth=1
	v_mov_b64_e32 v[8:9], 0
	v_mov_b64_e32 v[10:11], 0
	s_wait_xcnt 0x0
	s_and_saveexec_b32 s3, s2
	s_cbranch_execz .LBB8_26
; %bb.21:                               ;   in Loop: Header=BB8_5 Depth=1
	v_add_nc_u64_e32 v[24:25], v[24:25], v[20:21]
	v_add_nc_u64_e32 v[26:27], v[26:27], v[18:19]
	v_mov_b64_e32 v[8:9], 0
	v_mov_b64_e32 v[10:11], 0
	v_dual_mov_b32 v28, v13 :: v_dual_mov_b32 v29, v12
	s_mov_b32 s26, 0
	s_branch .LBB8_23
.LBB8_22:                               ;   in Loop: Header=BB8_23 Depth=2
	s_wait_xcnt 0x0
	s_or_b32 exec_lo, exec_lo, s27
	v_subrev_nc_u32_e32 v28, 32, v28
	v_add_nc_u64_e32 v[24:25], s[34:35], v[24:25]
	v_add_nc_u64_e32 v[26:27], s[30:31], v[26:27]
	v_add_nc_u32_e32 v29, 32, v29
	s_delay_alu instid0(VALU_DEP_4) | instskip(SKIP_1) | instid1(SALU_CYCLE_1)
	v_cmp_gt_u32_e32 vcc_lo, 32, v28
	s_or_b32 s26, vcc_lo, s26
	s_and_not1_b32 exec_lo, exec_lo, s26
	s_cbranch_execz .LBB8_25
.LBB8_23:                               ;   Parent Loop BB8_5 Depth=1
                                        ; =>  This Inner Loop Header: Depth=2
	s_mov_b32 s27, exec_lo
	s_delay_alu instid0(VALU_DEP_1)
	v_cmpx_gt_i32_e64 s22, v29
	s_cbranch_execz .LBB8_22
; %bb.24:                               ;   in Loop: Header=BB8_23 Depth=2
	flat_load_b128 v[30:33], v[26:27] offset:-8
	flat_load_b128 v[34:37], v[24:25] offset:-8
	s_wait_loadcnt_dscnt 0x0
	v_mul_f64_e32 v[38:39], v[32:33], v[36:37]
	v_mul_f64_e32 v[36:37], v[30:31], v[36:37]
	s_delay_alu instid0(VALU_DEP_2) | instskip(NEXT) | instid1(VALU_DEP_2)
	v_fma_f64 v[30:31], v[30:31], v[34:35], -v[38:39]
	v_fmac_f64_e32 v[36:37], v[32:33], v[34:35]
	s_delay_alu instid0(VALU_DEP_2) | instskip(NEXT) | instid1(VALU_DEP_2)
	v_add_f64_e32 v[10:11], v[10:11], v[30:31]
	v_add_f64_e32 v[8:9], v[8:9], v[36:37]
	s_branch .LBB8_22
.LBB8_25:                               ;   in Loop: Header=BB8_5 Depth=1
	s_or_b32 exec_lo, exec_lo, s26
.LBB8_26:                               ;   in Loop: Header=BB8_5 Depth=1
	s_delay_alu instid0(SALU_CYCLE_1)
	s_or_b32 exec_lo, exec_lo, s3
	v_lshl_or_b32 v26, v16, 2, 64
	v_cmp_gt_u32_e32 vcc_lo, 24, v16
	s_wait_loadcnt 0x0
	s_barrier_signal -1
	s_barrier_wait -1
	ds_bpermute_b32 v24, v26, v8
	ds_bpermute_b32 v25, v26, v9
	s_wait_dscnt 0x0
	v_add_f64_e32 v[8:9], v[8:9], v[24:25]
	ds_bpermute_b32 v24, v26, v10
	ds_bpermute_b32 v25, v26, v11
	v_cndmask_b32_e64 v26, 0, 8, vcc_lo
	v_cmp_gt_u32_e32 vcc_lo, 28, v16
	s_delay_alu instid0(VALU_DEP_2)
	v_add_lshl_u32 v26, v26, v16, 2
	s_wait_dscnt 0x0
	v_add_f64_e32 v[10:11], v[10:11], v[24:25]
	ds_bpermute_b32 v24, v26, v8
	ds_bpermute_b32 v25, v26, v9
	s_wait_dscnt 0x0
	v_add_f64_e32 v[8:9], v[8:9], v[24:25]
	ds_bpermute_b32 v24, v26, v10
	ds_bpermute_b32 v25, v26, v11
	v_cndmask_b32_e64 v26, 0, 4, vcc_lo
	v_cmp_gt_u32_e32 vcc_lo, 30, v16
	s_delay_alu instid0(VALU_DEP_2)
	v_add_lshl_u32 v26, v26, v16, 2
	s_wait_dscnt 0x0
	v_add_f64_e32 v[10:11], v[10:11], v[24:25]
	ds_bpermute_b32 v24, v26, v8
	ds_bpermute_b32 v25, v26, v9
	s_wait_dscnt 0x0
	v_add_f64_e32 v[8:9], v[8:9], v[24:25]
	ds_bpermute_b32 v24, v26, v10
	ds_bpermute_b32 v25, v26, v11
	v_cndmask_b32_e64 v26, 0, 2, vcc_lo
	v_cmp_ne_u32_e32 vcc_lo, 31, v16
	s_delay_alu instid0(VALU_DEP_2)
	v_add_lshl_u32 v26, v26, v16, 2
	s_wait_dscnt 0x0
	v_add_f64_e32 v[10:11], v[10:11], v[24:25]
	ds_bpermute_b32 v24, v26, v8
	ds_bpermute_b32 v25, v26, v9
	s_wait_dscnt 0x0
	v_add_f64_e32 v[8:9], v[8:9], v[24:25]
	ds_bpermute_b32 v24, v26, v10
	ds_bpermute_b32 v25, v26, v11
	v_add_co_ci_u32_e64 v26, null, 0, v16, vcc_lo
	s_wait_dscnt 0x0
	s_delay_alu instid0(VALU_DEP_1)
	v_dual_add_f64 v[10:11], v[10:11], v[24:25] :: v_dual_lshlrev_b32 v26, 2, v26
	ds_bpermute_b32 v24, v26, v8
	ds_bpermute_b32 v25, v26, v9
	s_wait_dscnt 0x0
	v_add_f64_e32 v[8:9], v[8:9], v[24:25]
	ds_bpermute_b32 v24, v26, v10
	ds_bpermute_b32 v25, v26, v11
	s_wait_dscnt 0x0
	v_add_f64_e32 v[24:25], v[10:11], v[24:25]
	v_mul_f64_e32 v[26:27], v[6:7], v[8:9]
	v_mul_f64_e32 v[10:11], v[4:5], v[8:9]
	s_delay_alu instid0(VALU_DEP_2) | instskip(NEXT) | instid1(VALU_DEP_2)
	v_fma_f64 v[8:9], v[4:5], v[24:25], -v[26:27]
	v_fmac_f64_e32 v[10:11], v[6:7], v[24:25]
.LBB8_27:                               ;   in Loop: Header=BB8_5 Depth=1
	s_wait_xcnt 0x0
	s_and_b32 exec_lo, exec_lo, s0
	s_cbranch_execz .LBB8_3
; %bb.28:                               ;   in Loop: Header=BB8_5 Depth=1
	v_cmp_neq_f64_e32 vcc_lo, 0, v[0:1]
	v_cmp_neq_f64_e64 s3, 0, v[2:3]
	s_wait_loadcnt 0x0
	v_add_nc_u64_e32 v[4:5], s[18:19], v[22:23]
	s_delay_alu instid0(VALU_DEP_1) | instskip(SKIP_1) | instid1(SALU_CYCLE_1)
	v_lshl_add_u64 v[4:5], v[14:15], 4, v[4:5]
	s_or_b32 s3, vcc_lo, s3
	s_and_not1_b32 vcc_lo, exec_lo, s3
	s_cbranch_vccnz .LBB8_2
; %bb.29:                               ;   in Loop: Header=BB8_5 Depth=1
	flat_load_b128 v[22:25], v[4:5]
	s_wait_loadcnt_dscnt 0x0
	v_mul_f64_e32 v[6:7], v[2:3], v[24:25]
	v_mul_f64_e32 v[24:25], v[0:1], v[24:25]
	s_delay_alu instid0(VALU_DEP_2) | instskip(NEXT) | instid1(VALU_DEP_2)
	v_fma_f64 v[0:1], v[0:1], v[22:23], -v[6:7]
	v_fmac_f64_e32 v[24:25], v[2:3], v[22:23]
	s_delay_alu instid0(VALU_DEP_2) | instskip(NEXT) | instid1(VALU_DEP_2)
	v_add_f64_e32 v[8:9], v[8:9], v[0:1]
	v_add_f64_e32 v[10:11], v[10:11], v[24:25]
	s_branch .LBB8_2
.LBB8_30:
	s_endpgm
	.section	.rodata,"a",@progbits
	.p2align	6, 0x0
	.amdhsa_kernel _ZL20rocblas_gbmvn_kernelILi32ELi32E24rocblas_internal_val_ptrI19rocblas_complex_numIdEEPKPKS2_PKPS2_EvbiiiiT1_T2_lllSC_lllSB_T3_llli
		.amdhsa_group_segment_fixed_size 0
		.amdhsa_private_segment_fixed_size 0
		.amdhsa_kernarg_size 156
		.amdhsa_user_sgpr_count 2
		.amdhsa_user_sgpr_dispatch_ptr 0
		.amdhsa_user_sgpr_queue_ptr 0
		.amdhsa_user_sgpr_kernarg_segment_ptr 1
		.amdhsa_user_sgpr_dispatch_id 0
		.amdhsa_user_sgpr_kernarg_preload_length 0
		.amdhsa_user_sgpr_kernarg_preload_offset 0
		.amdhsa_user_sgpr_private_segment_size 0
		.amdhsa_wavefront_size32 1
		.amdhsa_uses_dynamic_stack 0
		.amdhsa_enable_private_segment 0
		.amdhsa_system_sgpr_workgroup_id_x 1
		.amdhsa_system_sgpr_workgroup_id_y 0
		.amdhsa_system_sgpr_workgroup_id_z 1
		.amdhsa_system_sgpr_workgroup_info 0
		.amdhsa_system_vgpr_workitem_id 1
		.amdhsa_next_free_vgpr 40
		.amdhsa_next_free_sgpr 40
		.amdhsa_named_barrier_count 0
		.amdhsa_reserve_vcc 1
		.amdhsa_float_round_mode_32 0
		.amdhsa_float_round_mode_16_64 0
		.amdhsa_float_denorm_mode_32 3
		.amdhsa_float_denorm_mode_16_64 3
		.amdhsa_fp16_overflow 0
		.amdhsa_memory_ordered 1
		.amdhsa_forward_progress 1
		.amdhsa_inst_pref_size 12
		.amdhsa_round_robin_scheduling 0
		.amdhsa_exception_fp_ieee_invalid_op 0
		.amdhsa_exception_fp_denorm_src 0
		.amdhsa_exception_fp_ieee_div_zero 0
		.amdhsa_exception_fp_ieee_overflow 0
		.amdhsa_exception_fp_ieee_underflow 0
		.amdhsa_exception_fp_ieee_inexact 0
		.amdhsa_exception_int_div_zero 0
	.end_amdhsa_kernel
	.section	.text._ZL20rocblas_gbmvn_kernelILi32ELi32E24rocblas_internal_val_ptrI19rocblas_complex_numIdEEPKPKS2_PKPS2_EvbiiiiT1_T2_lllSC_lllSB_T3_llli,"axG",@progbits,_ZL20rocblas_gbmvn_kernelILi32ELi32E24rocblas_internal_val_ptrI19rocblas_complex_numIdEEPKPKS2_PKPS2_EvbiiiiT1_T2_lllSC_lllSB_T3_llli,comdat
.Lfunc_end8:
	.size	_ZL20rocblas_gbmvn_kernelILi32ELi32E24rocblas_internal_val_ptrI19rocblas_complex_numIdEEPKPKS2_PKPS2_EvbiiiiT1_T2_lllSC_lllSB_T3_llli, .Lfunc_end8-_ZL20rocblas_gbmvn_kernelILi32ELi32E24rocblas_internal_val_ptrI19rocblas_complex_numIdEEPKPKS2_PKPS2_EvbiiiiT1_T2_lllSC_lllSB_T3_llli
                                        ; -- End function
	.set _ZL20rocblas_gbmvn_kernelILi32ELi32E24rocblas_internal_val_ptrI19rocblas_complex_numIdEEPKPKS2_PKPS2_EvbiiiiT1_T2_lllSC_lllSB_T3_llli.num_vgpr, 40
	.set _ZL20rocblas_gbmvn_kernelILi32ELi32E24rocblas_internal_val_ptrI19rocblas_complex_numIdEEPKPKS2_PKPS2_EvbiiiiT1_T2_lllSC_lllSB_T3_llli.num_agpr, 0
	.set _ZL20rocblas_gbmvn_kernelILi32ELi32E24rocblas_internal_val_ptrI19rocblas_complex_numIdEEPKPKS2_PKPS2_EvbiiiiT1_T2_lllSC_lllSB_T3_llli.numbered_sgpr, 40
	.set _ZL20rocblas_gbmvn_kernelILi32ELi32E24rocblas_internal_val_ptrI19rocblas_complex_numIdEEPKPKS2_PKPS2_EvbiiiiT1_T2_lllSC_lllSB_T3_llli.num_named_barrier, 0
	.set _ZL20rocblas_gbmvn_kernelILi32ELi32E24rocblas_internal_val_ptrI19rocblas_complex_numIdEEPKPKS2_PKPS2_EvbiiiiT1_T2_lllSC_lllSB_T3_llli.private_seg_size, 0
	.set _ZL20rocblas_gbmvn_kernelILi32ELi32E24rocblas_internal_val_ptrI19rocblas_complex_numIdEEPKPKS2_PKPS2_EvbiiiiT1_T2_lllSC_lllSB_T3_llli.uses_vcc, 1
	.set _ZL20rocblas_gbmvn_kernelILi32ELi32E24rocblas_internal_val_ptrI19rocblas_complex_numIdEEPKPKS2_PKPS2_EvbiiiiT1_T2_lllSC_lllSB_T3_llli.uses_flat_scratch, 0
	.set _ZL20rocblas_gbmvn_kernelILi32ELi32E24rocblas_internal_val_ptrI19rocblas_complex_numIdEEPKPKS2_PKPS2_EvbiiiiT1_T2_lllSC_lllSB_T3_llli.has_dyn_sized_stack, 0
	.set _ZL20rocblas_gbmvn_kernelILi32ELi32E24rocblas_internal_val_ptrI19rocblas_complex_numIdEEPKPKS2_PKPS2_EvbiiiiT1_T2_lllSC_lllSB_T3_llli.has_recursion, 0
	.set _ZL20rocblas_gbmvn_kernelILi32ELi32E24rocblas_internal_val_ptrI19rocblas_complex_numIdEEPKPKS2_PKPS2_EvbiiiiT1_T2_lllSC_lllSB_T3_llli.has_indirect_call, 0
	.section	.AMDGPU.csdata,"",@progbits
; Kernel info:
; codeLenInByte = 1452
; TotalNumSgprs: 42
; NumVgprs: 40
; ScratchSize: 0
; MemoryBound: 0
; FloatMode: 240
; IeeeMode: 1
; LDSByteSize: 0 bytes/workgroup (compile time only)
; SGPRBlocks: 0
; VGPRBlocks: 2
; NumSGPRsForWavesPerEU: 42
; NumVGPRsForWavesPerEU: 40
; NamedBarCnt: 0
; Occupancy: 16
; WaveLimiterHint : 1
; COMPUTE_PGM_RSRC2:SCRATCH_EN: 0
; COMPUTE_PGM_RSRC2:USER_SGPR: 2
; COMPUTE_PGM_RSRC2:TRAP_HANDLER: 0
; COMPUTE_PGM_RSRC2:TGID_X_EN: 1
; COMPUTE_PGM_RSRC2:TGID_Y_EN: 0
; COMPUTE_PGM_RSRC2:TGID_Z_EN: 1
; COMPUTE_PGM_RSRC2:TIDIG_COMP_CNT: 1
	.section	.text._ZL20rocblas_gbmvn_kernelILi64ELi16E24rocblas_internal_val_ptrI19rocblas_complex_numIdEEPKPKS2_PKPS2_EvbiiiiT1_T2_lllSC_lllSB_T3_llli,"axG",@progbits,_ZL20rocblas_gbmvn_kernelILi64ELi16E24rocblas_internal_val_ptrI19rocblas_complex_numIdEEPKPKS2_PKPS2_EvbiiiiT1_T2_lllSC_lllSB_T3_llli,comdat
	.globl	_ZL20rocblas_gbmvn_kernelILi64ELi16E24rocblas_internal_val_ptrI19rocblas_complex_numIdEEPKPKS2_PKPS2_EvbiiiiT1_T2_lllSC_lllSB_T3_llli ; -- Begin function _ZL20rocblas_gbmvn_kernelILi64ELi16E24rocblas_internal_val_ptrI19rocblas_complex_numIdEEPKPKS2_PKPS2_EvbiiiiT1_T2_lllSC_lllSB_T3_llli
	.p2align	8
	.type	_ZL20rocblas_gbmvn_kernelILi64ELi16E24rocblas_internal_val_ptrI19rocblas_complex_numIdEEPKPKS2_PKPS2_EvbiiiiT1_T2_lllSC_lllSB_T3_llli,@function
_ZL20rocblas_gbmvn_kernelILi64ELi16E24rocblas_internal_val_ptrI19rocblas_complex_numIdEEPKPKS2_PKPS2_EvbiiiiT1_T2_lllSC_lllSB_T3_llli: ; @_ZL20rocblas_gbmvn_kernelILi64ELi16E24rocblas_internal_val_ptrI19rocblas_complex_numIdEEPKPKS2_PKPS2_EvbiiiiT1_T2_lllSC_lllSB_T3_llli
; %bb.0:
	s_load_b32 s33, s[0:1], 0x98
	s_bfe_u32 s2, ttmp6, 0x40014
	s_lshr_b32 s3, ttmp7, 16
	s_add_co_i32 s2, s2, 1
	s_bfe_u32 s5, ttmp6, 0x40008
	s_mul_i32 s4, s3, s2
	s_getreg_b32 s2, hwreg(HW_REG_IB_STS2, 6, 4)
	s_add_co_i32 s5, s5, s4
	s_cmp_eq_u32 s2, 0
	s_mov_b32 s29, 0
	s_cselect_b32 s28, s3, s5
	s_wait_kmcnt 0x0
	s_cmp_ge_u32 s28, s33
	s_cbranch_scc1 .LBB9_30
; %bb.1:
	s_clause 0x1
	s_load_b128 s[20:23], s[0:1], 0x0
	s_load_b32 s37, s[0:1], 0x10
	v_bfe_u32 v1, v0, 10, 10
	s_clause 0x1
	s_load_b64 s[30:31], s[0:1], 0x38
	s_load_b128 s[24:27], s[0:1], 0x48
	v_and_b32_e32 v8, 0x3ff, v0
	s_load_b256 s[12:19], s[0:1], 0x68
	s_mov_b64 s[34:35], 0xfffffffffffffc00
	s_wait_kmcnt 0x0
	s_bitcmp1_b32 s20, 0
	s_cselect_b32 s3, -1, 0
	s_bfe_u32 s4, ttmp6, 0x4000c
	s_and_b32 s5, ttmp6, 15
	s_add_co_i32 s4, s4, 1
	s_xor_b32 s36, s3, -1
	s_mul_i32 s4, ttmp9, s4
	s_delay_alu instid0(SALU_CYCLE_1)
	s_add_co_i32 s5, s5, s4
	s_cmp_eq_u32 s2, 0
	s_cselect_b32 s2, ttmp9, s5
	s_load_b64 s[4:5], s[0:1], 0x88
	v_lshl_add_u32 v2, s2, 4, v1
	s_load_b64 s[2:3], s[0:1], 0x58
	s_lshl_b64 s[38:39], s[30:31], 10
	s_lshl_b64 s[18:19], s[18:19], 4
	s_add_nc_u64 s[34:35], s[38:39], s[34:35]
	v_subrev_nc_u32_e32 v1, s23, v2
	v_dual_ashrrev_i32 v3, 31, v2 :: v_dual_min_i32 v6, s23, v2
	s_delay_alu instid0(VALU_DEP_2) | instskip(NEXT) | instid1(VALU_DEP_1)
	v_max_i32_e32 v0, 0, v1
	v_add_nc_u32_e32 v12, v0, v8
	s_wait_kmcnt 0x0
	s_delay_alu instid0(VALU_DEP_3) | instskip(NEXT) | instid1(VALU_DEP_2)
	v_mul_u64_e32 v[14:15], s[4:5], v[2:3]
	v_ashrrev_i32_e32 v13, 31, v12
	v_dual_sub_nc_u32 v3, s37, v8 :: v_dual_mov_b32 v17, 0
	s_load_b256 s[4:11], s[0:1], 0x18
	s_wait_xcnt 0x0
	v_cmp_eq_u32_e64 s0, 0, v8
	v_mul_u64_e32 v[4:5], s[30:31], v[12:13]
	v_mul_u64_e32 v[0:1], s[2:3], v[12:13]
	v_dual_add_nc_u32 v16, v3, v6 :: v_dual_add_nc_u32 v3, s37, v6
	s_lshl_b64 s[30:31], s[2:3], 10
	v_cmp_gt_i32_e64 s1, s21, v2
	s_lshl_b64 s[20:21], s[26:27], 4
	v_lshlrev_b64_e32 v[6:7], 4, v[16:17]
	v_cmp_lt_i32_e64 s2, -1, v16
	v_mbcnt_lo_u32_b32 v16, -1, 0
	s_wait_kmcnt 0x0
	s_lshl_b64 s[10:11], s[10:11], 4
	v_lshl_add_u64 v[20:21], v[4:5], 4, v[6:7]
	v_lshlrev_b64_e32 v[18:19], 4, v[0:1]
	s_delay_alu instid0(VALU_DEP_2) | instskip(NEXT) | instid1(VALU_DEP_2)
	v_or_b32_e32 v20, 8, v20
	v_dual_sub_nc_u32 v3, v3, v8 :: v_dual_bitop2_b32 v18, 8, v18 bitop3:0x54
	s_delay_alu instid0(VALU_DEP_1)
	v_add_nc_u32_e32 v13, 64, v3
	s_branch .LBB9_5
.LBB9_2:                                ;   in Loop: Header=BB9_5 Depth=1
	flat_store_b128 v[4:5], v[8:11]
.LBB9_3:                                ;   in Loop: Header=BB9_5 Depth=1
	s_wait_xcnt 0x0
	s_or_b32 exec_lo, exec_lo, s23
.LBB9_4:                                ;   in Loop: Header=BB9_5 Depth=1
	s_add_co_i32 s28, s28, 0x10000
	s_delay_alu instid0(SALU_CYCLE_1)
	s_cmp_lt_u32 s28, s33
	s_cbranch_scc0 .LBB9_30
.LBB9_5:                                ; =>This Loop Header: Depth=1
                                        ;     Child Loop BB9_23 Depth 2
	v_mov_b64_e32 v[6:7], s[6:7]
	v_mov_b64_e32 v[4:5], s[4:5]
	s_and_not1_b32 vcc_lo, exec_lo, s36
	s_cbranch_vccnz .LBB9_7
; %bb.6:                                ;   in Loop: Header=BB9_5 Depth=1
	global_load_b128 v[4:7], v17, s[4:5]
.LBB9_7:                                ;   in Loop: Header=BB9_5 Depth=1
	v_mov_b64_e32 v[2:3], s[14:15]
	v_mov_b64_e32 v[0:1], s[12:13]
	s_and_not1_b32 vcc_lo, exec_lo, s36
	s_cbranch_vccnz .LBB9_9
; %bb.8:                                ;   in Loop: Header=BB9_5 Depth=1
	global_load_b128 v[0:3], v17, s[12:13]
.LBB9_9:                                ;   in Loop: Header=BB9_5 Depth=1
	s_wait_loadcnt 0x0
	v_cmp_neq_f64_e32 vcc_lo, 0, v[4:5]
	v_cmp_neq_f64_e64 s3, 0, v[6:7]
	s_or_b32 s23, vcc_lo, s3
	s_delay_alu instid0(SALU_CYCLE_1)
	s_and_b32 vcc_lo, exec_lo, s23
	s_cbranch_vccnz .LBB9_12
; %bb.10:                               ;   in Loop: Header=BB9_5 Depth=1
	v_cmp_eq_f64_e32 vcc_lo, 1.0, v[0:1]
	v_cmp_eq_f64_e64 s3, 0, v[2:3]
	s_wait_xcnt 0x0
	s_mov_b32 s26, 0
	s_and_b32 s3, vcc_lo, s3
	s_delay_alu instid0(SALU_CYCLE_1)
	s_and_not1_b32 vcc_lo, exec_lo, s3
	s_mov_b32 s3, 0
	s_cbranch_vccz .LBB9_13
; %bb.11:                               ;   in Loop: Header=BB9_5 Depth=1
	s_mov_b32 s3, -1
	s_branch .LBB9_13
.LBB9_12:                               ;   in Loop: Header=BB9_5 Depth=1
	s_wait_xcnt 0x0
	s_mov_b32 s26, -1
	s_mov_b32 s3, 0
.LBB9_13:                               ;   in Loop: Header=BB9_5 Depth=1
	v_mov_b64_e32 v[24:25], 0
	s_and_b32 vcc_lo, exec_lo, s26
	s_cbranch_vccnz .LBB9_15
; %bb.14:                               ;   in Loop: Header=BB9_5 Depth=1
	s_and_not1_b32 vcc_lo, exec_lo, s3
	s_cbranch_vccnz .LBB9_4
	s_branch .LBB9_16
.LBB9_15:                               ;   in Loop: Header=BB9_5 Depth=1
	s_lshl_b64 s[26:27], s[28:29], 3
	s_delay_alu instid0(SALU_CYCLE_1)
	s_add_nc_u64 s[26:27], s[8:9], s[26:27]
	global_load_b64 v[8:9], v17, s[26:27]
	s_wait_loadcnt 0x0
	v_add_nc_u64_e32 v[24:25], s[10:11], v[8:9]
.LBB9_16:                               ;   in Loop: Header=BB9_5 Depth=1
	v_mov_b64_e32 v[26:27], 0
	v_cndmask_b32_e64 v8, 0, 1, s23
	s_and_not1_b32 vcc_lo, exec_lo, s23
	s_cbranch_vccnz .LBB9_18
; %bb.17:                               ;   in Loop: Header=BB9_5 Depth=1
	s_wait_xcnt 0x0
	s_lshl_b64 s[26:27], s[28:29], 3
	s_delay_alu instid0(SALU_CYCLE_1)
	s_add_nc_u64 s[26:27], s[24:25], s[26:27]
	global_load_b64 v[10:11], v17, s[26:27]
	s_wait_loadcnt 0x0
	v_add_nc_u64_e32 v[26:27], s[20:21], v[10:11]
.LBB9_18:                               ;   in Loop: Header=BB9_5 Depth=1
	s_wait_xcnt 0x0
	s_and_saveexec_b32 s23, s1
	s_cbranch_execz .LBB9_3
; %bb.19:                               ;   in Loop: Header=BB9_5 Depth=1
	s_lshl_b64 s[26:27], s[28:29], 3
	v_mov_b64_e32 v[10:11], 0
	s_add_nc_u64 s[26:27], s[16:17], s[26:27]
	v_cmp_ne_u32_e32 vcc_lo, 1, v8
	global_load_b64 v[22:23], v17, s[26:27]
	v_mov_b64_e32 v[8:9], 0
	s_cbranch_vccnz .LBB9_27
; %bb.20:                               ;   in Loop: Header=BB9_5 Depth=1
	v_mov_b64_e32 v[8:9], 0
	v_mov_b64_e32 v[10:11], 0
	s_wait_xcnt 0x0
	s_and_saveexec_b32 s3, s2
	s_cbranch_execz .LBB9_26
; %bb.21:                               ;   in Loop: Header=BB9_5 Depth=1
	v_add_nc_u64_e32 v[24:25], v[24:25], v[20:21]
	v_add_nc_u64_e32 v[26:27], v[26:27], v[18:19]
	v_mov_b64_e32 v[8:9], 0
	v_mov_b64_e32 v[10:11], 0
	v_dual_mov_b32 v28, v13 :: v_dual_mov_b32 v29, v12
	s_mov_b32 s26, 0
	s_branch .LBB9_23
.LBB9_22:                               ;   in Loop: Header=BB9_23 Depth=2
	s_wait_xcnt 0x0
	s_or_b32 exec_lo, exec_lo, s27
	v_subrev_nc_u32_e32 v28, 64, v28
	v_add_nc_u64_e32 v[24:25], s[34:35], v[24:25]
	v_add_nc_u64_e32 v[26:27], s[30:31], v[26:27]
	v_add_nc_u32_e32 v29, 64, v29
	s_delay_alu instid0(VALU_DEP_4) | instskip(SKIP_1) | instid1(SALU_CYCLE_1)
	v_cmp_gt_u32_e32 vcc_lo, 64, v28
	s_or_b32 s26, vcc_lo, s26
	s_and_not1_b32 exec_lo, exec_lo, s26
	s_cbranch_execz .LBB9_25
.LBB9_23:                               ;   Parent Loop BB9_5 Depth=1
                                        ; =>  This Inner Loop Header: Depth=2
	s_mov_b32 s27, exec_lo
	s_delay_alu instid0(VALU_DEP_1)
	v_cmpx_gt_i32_e64 s22, v29
	s_cbranch_execz .LBB9_22
; %bb.24:                               ;   in Loop: Header=BB9_23 Depth=2
	flat_load_b128 v[30:33], v[26:27] offset:-8
	flat_load_b128 v[34:37], v[24:25] offset:-8
	s_wait_loadcnt_dscnt 0x0
	v_mul_f64_e32 v[38:39], v[32:33], v[36:37]
	v_mul_f64_e32 v[36:37], v[30:31], v[36:37]
	s_delay_alu instid0(VALU_DEP_2) | instskip(NEXT) | instid1(VALU_DEP_2)
	v_fma_f64 v[30:31], v[30:31], v[34:35], -v[38:39]
	v_fmac_f64_e32 v[36:37], v[32:33], v[34:35]
	s_delay_alu instid0(VALU_DEP_2) | instskip(NEXT) | instid1(VALU_DEP_2)
	v_add_f64_e32 v[10:11], v[10:11], v[30:31]
	v_add_f64_e32 v[8:9], v[8:9], v[36:37]
	s_branch .LBB9_22
.LBB9_25:                               ;   in Loop: Header=BB9_5 Depth=1
	s_or_b32 exec_lo, exec_lo, s26
.LBB9_26:                               ;   in Loop: Header=BB9_5 Depth=1
	s_delay_alu instid0(SALU_CYCLE_1)
	s_or_b32 exec_lo, exec_lo, s3
	v_lshlrev_b32_e32 v26, 2, v16
	v_cmp_gt_u32_e32 vcc_lo, 24, v16
	s_wait_loadcnt 0x0
	s_barrier_signal -1
	s_barrier_wait -1
	ds_bpermute_b32 v24, v26, v8
	ds_bpermute_b32 v25, v26, v9
	s_wait_dscnt 0x0
	v_add_f64_e32 v[8:9], v[8:9], v[24:25]
	ds_bpermute_b32 v24, v26, v10
	ds_bpermute_b32 v25, v26, v11
	s_wait_dscnt 0x0
	v_dual_add_f64 v[10:11], v[10:11], v[24:25] :: v_dual_bitop2_b32 v26, 64, v26 bitop3:0x54
	ds_bpermute_b32 v24, v26, v8
	ds_bpermute_b32 v25, v26, v9
	s_wait_dscnt 0x0
	v_add_f64_e32 v[8:9], v[8:9], v[24:25]
	ds_bpermute_b32 v24, v26, v10
	ds_bpermute_b32 v25, v26, v11
	v_cndmask_b32_e64 v26, 0, 8, vcc_lo
	v_cmp_gt_u32_e32 vcc_lo, 28, v16
	s_delay_alu instid0(VALU_DEP_2)
	v_add_lshl_u32 v26, v26, v16, 2
	s_wait_dscnt 0x0
	v_add_f64_e32 v[10:11], v[10:11], v[24:25]
	ds_bpermute_b32 v24, v26, v8
	ds_bpermute_b32 v25, v26, v9
	s_wait_dscnt 0x0
	v_add_f64_e32 v[8:9], v[8:9], v[24:25]
	ds_bpermute_b32 v24, v26, v10
	ds_bpermute_b32 v25, v26, v11
	v_cndmask_b32_e64 v26, 0, 4, vcc_lo
	v_cmp_gt_u32_e32 vcc_lo, 30, v16
	s_delay_alu instid0(VALU_DEP_2)
	v_add_lshl_u32 v26, v26, v16, 2
	s_wait_dscnt 0x0
	v_add_f64_e32 v[10:11], v[10:11], v[24:25]
	ds_bpermute_b32 v24, v26, v8
	ds_bpermute_b32 v25, v26, v9
	s_wait_dscnt 0x0
	v_add_f64_e32 v[8:9], v[8:9], v[24:25]
	ds_bpermute_b32 v24, v26, v10
	ds_bpermute_b32 v25, v26, v11
	v_cndmask_b32_e64 v26, 0, 2, vcc_lo
	v_cmp_ne_u32_e32 vcc_lo, 31, v16
	s_delay_alu instid0(VALU_DEP_2)
	v_add_lshl_u32 v26, v26, v16, 2
	s_wait_dscnt 0x0
	v_add_f64_e32 v[10:11], v[10:11], v[24:25]
	ds_bpermute_b32 v24, v26, v8
	ds_bpermute_b32 v25, v26, v9
	s_wait_dscnt 0x0
	v_add_f64_e32 v[8:9], v[8:9], v[24:25]
	ds_bpermute_b32 v24, v26, v10
	ds_bpermute_b32 v25, v26, v11
	v_add_co_ci_u32_e64 v26, null, 0, v16, vcc_lo
	s_wait_dscnt 0x0
	s_delay_alu instid0(VALU_DEP_1)
	v_dual_add_f64 v[10:11], v[10:11], v[24:25] :: v_dual_lshlrev_b32 v26, 2, v26
	ds_bpermute_b32 v24, v26, v8
	ds_bpermute_b32 v25, v26, v9
	s_wait_dscnt 0x0
	v_add_f64_e32 v[8:9], v[8:9], v[24:25]
	ds_bpermute_b32 v24, v26, v10
	ds_bpermute_b32 v25, v26, v11
	s_wait_dscnt 0x0
	v_add_f64_e32 v[24:25], v[10:11], v[24:25]
	v_mul_f64_e32 v[26:27], v[6:7], v[8:9]
	v_mul_f64_e32 v[10:11], v[4:5], v[8:9]
	s_delay_alu instid0(VALU_DEP_2) | instskip(NEXT) | instid1(VALU_DEP_2)
	v_fma_f64 v[8:9], v[4:5], v[24:25], -v[26:27]
	v_fmac_f64_e32 v[10:11], v[6:7], v[24:25]
.LBB9_27:                               ;   in Loop: Header=BB9_5 Depth=1
	s_wait_xcnt 0x0
	s_and_b32 exec_lo, exec_lo, s0
	s_cbranch_execz .LBB9_3
; %bb.28:                               ;   in Loop: Header=BB9_5 Depth=1
	v_cmp_neq_f64_e32 vcc_lo, 0, v[0:1]
	v_cmp_neq_f64_e64 s3, 0, v[2:3]
	s_wait_loadcnt 0x0
	v_add_nc_u64_e32 v[4:5], s[18:19], v[22:23]
	s_delay_alu instid0(VALU_DEP_1) | instskip(SKIP_1) | instid1(SALU_CYCLE_1)
	v_lshl_add_u64 v[4:5], v[14:15], 4, v[4:5]
	s_or_b32 s3, vcc_lo, s3
	s_and_not1_b32 vcc_lo, exec_lo, s3
	s_cbranch_vccnz .LBB9_2
; %bb.29:                               ;   in Loop: Header=BB9_5 Depth=1
	flat_load_b128 v[22:25], v[4:5]
	s_wait_loadcnt_dscnt 0x0
	v_mul_f64_e32 v[6:7], v[2:3], v[24:25]
	v_mul_f64_e32 v[24:25], v[0:1], v[24:25]
	s_delay_alu instid0(VALU_DEP_2) | instskip(NEXT) | instid1(VALU_DEP_2)
	v_fma_f64 v[0:1], v[0:1], v[22:23], -v[6:7]
	v_fmac_f64_e32 v[24:25], v[2:3], v[22:23]
	s_delay_alu instid0(VALU_DEP_2) | instskip(NEXT) | instid1(VALU_DEP_2)
	v_add_f64_e32 v[8:9], v[8:9], v[0:1]
	v_add_f64_e32 v[10:11], v[10:11], v[24:25]
	s_branch .LBB9_2
.LBB9_30:
	s_endpgm
	.section	.rodata,"a",@progbits
	.p2align	6, 0x0
	.amdhsa_kernel _ZL20rocblas_gbmvn_kernelILi64ELi16E24rocblas_internal_val_ptrI19rocblas_complex_numIdEEPKPKS2_PKPS2_EvbiiiiT1_T2_lllSC_lllSB_T3_llli
		.amdhsa_group_segment_fixed_size 0
		.amdhsa_private_segment_fixed_size 0
		.amdhsa_kernarg_size 156
		.amdhsa_user_sgpr_count 2
		.amdhsa_user_sgpr_dispatch_ptr 0
		.amdhsa_user_sgpr_queue_ptr 0
		.amdhsa_user_sgpr_kernarg_segment_ptr 1
		.amdhsa_user_sgpr_dispatch_id 0
		.amdhsa_user_sgpr_kernarg_preload_length 0
		.amdhsa_user_sgpr_kernarg_preload_offset 0
		.amdhsa_user_sgpr_private_segment_size 0
		.amdhsa_wavefront_size32 1
		.amdhsa_uses_dynamic_stack 0
		.amdhsa_enable_private_segment 0
		.amdhsa_system_sgpr_workgroup_id_x 1
		.amdhsa_system_sgpr_workgroup_id_y 0
		.amdhsa_system_sgpr_workgroup_id_z 1
		.amdhsa_system_sgpr_workgroup_info 0
		.amdhsa_system_vgpr_workitem_id 1
		.amdhsa_next_free_vgpr 40
		.amdhsa_next_free_sgpr 40
		.amdhsa_named_barrier_count 0
		.amdhsa_reserve_vcc 1
		.amdhsa_float_round_mode_32 0
		.amdhsa_float_round_mode_16_64 0
		.amdhsa_float_denorm_mode_32 3
		.amdhsa_float_denorm_mode_16_64 3
		.amdhsa_fp16_overflow 0
		.amdhsa_memory_ordered 1
		.amdhsa_forward_progress 1
		.amdhsa_inst_pref_size 12
		.amdhsa_round_robin_scheduling 0
		.amdhsa_exception_fp_ieee_invalid_op 0
		.amdhsa_exception_fp_denorm_src 0
		.amdhsa_exception_fp_ieee_div_zero 0
		.amdhsa_exception_fp_ieee_overflow 0
		.amdhsa_exception_fp_ieee_underflow 0
		.amdhsa_exception_fp_ieee_inexact 0
		.amdhsa_exception_int_div_zero 0
	.end_amdhsa_kernel
	.section	.text._ZL20rocblas_gbmvn_kernelILi64ELi16E24rocblas_internal_val_ptrI19rocblas_complex_numIdEEPKPKS2_PKPS2_EvbiiiiT1_T2_lllSC_lllSB_T3_llli,"axG",@progbits,_ZL20rocblas_gbmvn_kernelILi64ELi16E24rocblas_internal_val_ptrI19rocblas_complex_numIdEEPKPKS2_PKPS2_EvbiiiiT1_T2_lllSC_lllSB_T3_llli,comdat
.Lfunc_end9:
	.size	_ZL20rocblas_gbmvn_kernelILi64ELi16E24rocblas_internal_val_ptrI19rocblas_complex_numIdEEPKPKS2_PKPS2_EvbiiiiT1_T2_lllSC_lllSB_T3_llli, .Lfunc_end9-_ZL20rocblas_gbmvn_kernelILi64ELi16E24rocblas_internal_val_ptrI19rocblas_complex_numIdEEPKPKS2_PKPS2_EvbiiiiT1_T2_lllSC_lllSB_T3_llli
                                        ; -- End function
	.set _ZL20rocblas_gbmvn_kernelILi64ELi16E24rocblas_internal_val_ptrI19rocblas_complex_numIdEEPKPKS2_PKPS2_EvbiiiiT1_T2_lllSC_lllSB_T3_llli.num_vgpr, 40
	.set _ZL20rocblas_gbmvn_kernelILi64ELi16E24rocblas_internal_val_ptrI19rocblas_complex_numIdEEPKPKS2_PKPS2_EvbiiiiT1_T2_lllSC_lllSB_T3_llli.num_agpr, 0
	.set _ZL20rocblas_gbmvn_kernelILi64ELi16E24rocblas_internal_val_ptrI19rocblas_complex_numIdEEPKPKS2_PKPS2_EvbiiiiT1_T2_lllSC_lllSB_T3_llli.numbered_sgpr, 40
	.set _ZL20rocblas_gbmvn_kernelILi64ELi16E24rocblas_internal_val_ptrI19rocblas_complex_numIdEEPKPKS2_PKPS2_EvbiiiiT1_T2_lllSC_lllSB_T3_llli.num_named_barrier, 0
	.set _ZL20rocblas_gbmvn_kernelILi64ELi16E24rocblas_internal_val_ptrI19rocblas_complex_numIdEEPKPKS2_PKPS2_EvbiiiiT1_T2_lllSC_lllSB_T3_llli.private_seg_size, 0
	.set _ZL20rocblas_gbmvn_kernelILi64ELi16E24rocblas_internal_val_ptrI19rocblas_complex_numIdEEPKPKS2_PKPS2_EvbiiiiT1_T2_lllSC_lllSB_T3_llli.uses_vcc, 1
	.set _ZL20rocblas_gbmvn_kernelILi64ELi16E24rocblas_internal_val_ptrI19rocblas_complex_numIdEEPKPKS2_PKPS2_EvbiiiiT1_T2_lllSC_lllSB_T3_llli.uses_flat_scratch, 0
	.set _ZL20rocblas_gbmvn_kernelILi64ELi16E24rocblas_internal_val_ptrI19rocblas_complex_numIdEEPKPKS2_PKPS2_EvbiiiiT1_T2_lllSC_lllSB_T3_llli.has_dyn_sized_stack, 0
	.set _ZL20rocblas_gbmvn_kernelILi64ELi16E24rocblas_internal_val_ptrI19rocblas_complex_numIdEEPKPKS2_PKPS2_EvbiiiiT1_T2_lllSC_lllSB_T3_llli.has_recursion, 0
	.set _ZL20rocblas_gbmvn_kernelILi64ELi16E24rocblas_internal_val_ptrI19rocblas_complex_numIdEEPKPKS2_PKPS2_EvbiiiiT1_T2_lllSC_lllSB_T3_llli.has_indirect_call, 0
	.section	.AMDGPU.csdata,"",@progbits
; Kernel info:
; codeLenInByte = 1504
; TotalNumSgprs: 42
; NumVgprs: 40
; ScratchSize: 0
; MemoryBound: 0
; FloatMode: 240
; IeeeMode: 1
; LDSByteSize: 0 bytes/workgroup (compile time only)
; SGPRBlocks: 0
; VGPRBlocks: 2
; NumSGPRsForWavesPerEU: 42
; NumVGPRsForWavesPerEU: 40
; NamedBarCnt: 0
; Occupancy: 16
; WaveLimiterHint : 1
; COMPUTE_PGM_RSRC2:SCRATCH_EN: 0
; COMPUTE_PGM_RSRC2:USER_SGPR: 2
; COMPUTE_PGM_RSRC2:TRAP_HANDLER: 0
; COMPUTE_PGM_RSRC2:TGID_X_EN: 1
; COMPUTE_PGM_RSRC2:TGID_Y_EN: 0
; COMPUTE_PGM_RSRC2:TGID_Z_EN: 1
; COMPUTE_PGM_RSRC2:TIDIG_COMP_CNT: 1
	.section	.text._ZL20rocblas_gbmvt_kernelILi32ELi32E24rocblas_internal_val_ptrI19rocblas_complex_numIdEEPKPKS2_PKPS2_Evb18rocblas_operation_iiiiT1_T2_lllSD_lllSC_T3_llli,"axG",@progbits,_ZL20rocblas_gbmvt_kernelILi32ELi32E24rocblas_internal_val_ptrI19rocblas_complex_numIdEEPKPKS2_PKPS2_Evb18rocblas_operation_iiiiT1_T2_lllSD_lllSC_T3_llli,comdat
	.globl	_ZL20rocblas_gbmvt_kernelILi32ELi32E24rocblas_internal_val_ptrI19rocblas_complex_numIdEEPKPKS2_PKPS2_Evb18rocblas_operation_iiiiT1_T2_lllSD_lllSC_T3_llli ; -- Begin function _ZL20rocblas_gbmvt_kernelILi32ELi32E24rocblas_internal_val_ptrI19rocblas_complex_numIdEEPKPKS2_PKPS2_Evb18rocblas_operation_iiiiT1_T2_lllSD_lllSC_T3_llli
	.p2align	8
	.type	_ZL20rocblas_gbmvt_kernelILi32ELi32E24rocblas_internal_val_ptrI19rocblas_complex_numIdEEPKPKS2_PKPS2_Evb18rocblas_operation_iiiiT1_T2_lllSD_lllSC_T3_llli,@function
_ZL20rocblas_gbmvt_kernelILi32ELi32E24rocblas_internal_val_ptrI19rocblas_complex_numIdEEPKPKS2_PKPS2_Evb18rocblas_operation_iiiiT1_T2_lllSD_lllSC_T3_llli: ; @_ZL20rocblas_gbmvt_kernelILi32ELi32E24rocblas_internal_val_ptrI19rocblas_complex_numIdEEPKPKS2_PKPS2_Evb18rocblas_operation_iiiiT1_T2_lllSD_lllSC_T3_llli
; %bb.0:
	s_load_b32 s33, s[0:1], 0x98
	s_bfe_u32 s2, ttmp6, 0x40014
	s_lshr_b32 s3, ttmp7, 16
	s_add_co_i32 s2, s2, 1
	s_bfe_u32 s5, ttmp6, 0x40008
	s_mul_i32 s4, s3, s2
	s_getreg_b32 s2, hwreg(HW_REG_IB_STS2, 6, 4)
	s_add_co_i32 s5, s5, s4
	s_cmp_eq_u32 s2, 0
	s_mov_b32 s29, 0
	s_cselect_b32 s28, s3, s5
	s_wait_kmcnt 0x0
	s_cmp_ge_u32 s28, s33
	s_cbranch_scc1 .LBB10_32
; %bb.1:
	s_clause 0x2
	s_load_b128 s[4:7], s[0:1], 0x0
	s_load_b64 s[30:31], s[0:1], 0x10
	s_load_b64 s[8:9], s[0:1], 0x38
	v_bfe_u32 v1, v0, 10, 10
	v_and_b32_e32 v30, 0x3ff, v0
	v_mov_b32_e32 v19, 0
	s_load_b128 s[24:27], s[0:1], 0x48
	s_wait_kmcnt 0x0
	s_bitcmp1_b32 s4, 0
	v_sub_nc_u32_e32 v12, s31, v30
	s_cselect_b32 s3, -1, 0
	s_bfe_u32 s4, ttmp6, 0x4000c
	s_and_b32 s10, ttmp6, 15
	s_add_co_i32 s4, s4, 1
	s_xor_b32 s36, s3, -1
	s_mul_i32 s4, ttmp9, s4
	s_delay_alu instid0(SALU_CYCLE_1)
	s_add_co_i32 s10, s10, s4
	s_cmp_eq_u32 s2, 0
	s_load_b64 s[2:3], s[0:1], 0x58
	s_cselect_b32 s4, ttmp9, s10
	s_load_b64 s[10:11], s[0:1], 0x88
	v_lshl_add_u32 v14, s4, 5, v1
	v_ashrrev_i32_e32 v13, 31, v12
	s_cmp_eq_u32 s5, 0x71
	s_delay_alu instid0(VALU_DEP_2) | instskip(NEXT) | instid1(VALU_DEP_1)
	v_ashrrev_i32_e32 v15, 31, v14
	v_sub_nc_u64_e32 v[0:1], v[14:15], v[12:13]
	v_mul_u64_e32 v[2:3], s[8:9], v[14:15]
	v_mbcnt_lo_u32_b32 v13, -1, 0
	s_wait_kmcnt 0x0
	s_delay_alu instid0(VALU_DEP_3)
	v_mul_u64_e32 v[0:1], s[2:3], v[0:1]
	v_mul_u64_e32 v[16:17], s[10:11], v[14:15]
	s_clause 0x1
	s_load_b256 s[8:15], s[0:1], 0x18
	s_load_b256 s[16:23], s[0:1], 0x68
	s_wait_xcnt 0x0
	s_cselect_b32 s1, -1, 0
	s_add_co_i32 s5, s31, s30
	v_cmp_eq_u32_e64 s0, 0, v30
	s_lshl_b64 s[34:35], s[2:3], 9
	v_cmp_ge_i32_e64 s2, s5, v30
	v_cmp_gt_i32_e64 s3, s7, v14
	s_lshl_b64 s[26:27], s[26:27], 4
	s_wait_kmcnt 0x0
	s_lshl_b64 s[14:15], s[14:15], 4
	s_lshl_b64 s[22:23], s[22:23], 4
	v_lshlrev_b64_e32 v[20:21], 4, v[0:1]
	s_delay_alu instid0(VALU_DEP_1) | instskip(NEXT) | instid1(VALU_DEP_1)
	v_dual_lshlrev_b32 v18, 4, v30 :: v_dual_bitop2_b32 v20, 8, v20 bitop3:0x54
	v_lshl_add_u64 v[22:23], v[2:3], 4, v[18:19]
	s_delay_alu instid0(VALU_DEP_1)
	v_or_b32_e32 v22, 8, v22
	s_branch .LBB10_5
.LBB10_2:                               ;   in Loop: Header=BB10_5 Depth=1
	flat_store_b128 v[4:5], v[8:11]
.LBB10_3:                               ;   in Loop: Header=BB10_5 Depth=1
	s_wait_xcnt 0x0
	s_or_b32 exec_lo, exec_lo, s7
.LBB10_4:                               ;   in Loop: Header=BB10_5 Depth=1
	s_add_co_i32 s28, s28, 0x10000
	s_delay_alu instid0(SALU_CYCLE_1)
	s_cmp_lt_u32 s28, s33
	s_cbranch_scc0 .LBB10_32
.LBB10_5:                               ; =>This Loop Header: Depth=1
                                        ;     Child Loop BB10_24 Depth 2
	v_mov_b64_e32 v[6:7], s[10:11]
	v_mov_b64_e32 v[4:5], s[8:9]
	s_and_not1_b32 vcc_lo, exec_lo, s36
	s_cbranch_vccnz .LBB10_7
; %bb.6:                                ;   in Loop: Header=BB10_5 Depth=1
	global_load_b128 v[4:7], v19, s[8:9]
.LBB10_7:                               ;   in Loop: Header=BB10_5 Depth=1
	v_mov_b64_e32 v[2:3], s[18:19]
	v_mov_b64_e32 v[0:1], s[16:17]
	s_and_not1_b32 vcc_lo, exec_lo, s36
	s_cbranch_vccnz .LBB10_9
; %bb.8:                                ;   in Loop: Header=BB10_5 Depth=1
	global_load_b128 v[0:3], v19, s[16:17]
.LBB10_9:                               ;   in Loop: Header=BB10_5 Depth=1
	s_wait_loadcnt 0x0
	v_cmp_neq_f64_e32 vcc_lo, 0, v[4:5]
	v_cmp_neq_f64_e64 s4, 0, v[6:7]
	s_or_b32 s7, vcc_lo, s4
	s_delay_alu instid0(SALU_CYCLE_1)
	s_and_b32 vcc_lo, exec_lo, s7
	s_cbranch_vccnz .LBB10_12
; %bb.10:                               ;   in Loop: Header=BB10_5 Depth=1
	v_cmp_eq_f64_e32 vcc_lo, 1.0, v[0:1]
	v_cmp_eq_f64_e64 s4, 0, v[2:3]
	s_mov_b32 s30, 0
	s_and_b32 s4, vcc_lo, s4
	s_delay_alu instid0(SALU_CYCLE_1)
	s_and_not1_b32 vcc_lo, exec_lo, s4
	s_mov_b32 s4, 0
	s_cbranch_vccz .LBB10_13
; %bb.11:                               ;   in Loop: Header=BB10_5 Depth=1
	s_mov_b32 s4, -1
	s_branch .LBB10_13
.LBB10_12:                              ;   in Loop: Header=BB10_5 Depth=1
	s_mov_b32 s30, -1
	s_mov_b32 s4, 0
.LBB10_13:                              ;   in Loop: Header=BB10_5 Depth=1
	v_mov_b64_e32 v[26:27], 0
	s_and_b32 vcc_lo, exec_lo, s30
	s_cbranch_vccnz .LBB10_15
; %bb.14:                               ;   in Loop: Header=BB10_5 Depth=1
	s_and_not1_b32 vcc_lo, exec_lo, s4
	s_cbranch_vccnz .LBB10_4
	s_branch .LBB10_16
.LBB10_15:                              ;   in Loop: Header=BB10_5 Depth=1
	s_wait_xcnt 0x0
	s_lshl_b64 s[38:39], s[28:29], 3
	s_delay_alu instid0(SALU_CYCLE_1)
	s_add_nc_u64 s[38:39], s[12:13], s[38:39]
	global_load_b64 v[8:9], v19, s[38:39]
	s_wait_loadcnt 0x0
	v_add_nc_u64_e32 v[26:27], s[14:15], v[8:9]
.LBB10_16:                              ;   in Loop: Header=BB10_5 Depth=1
	v_mov_b64_e32 v[28:29], 0
	v_cndmask_b32_e64 v8, 0, 1, s7
	s_and_not1_b32 vcc_lo, exec_lo, s7
	s_cbranch_vccnz .LBB10_18
; %bb.17:                               ;   in Loop: Header=BB10_5 Depth=1
	s_wait_xcnt 0x0
	s_lshl_b64 s[38:39], s[28:29], 3
	s_delay_alu instid0(SALU_CYCLE_1)
	s_add_nc_u64 s[38:39], s[24:25], s[38:39]
	global_load_b64 v[10:11], v19, s[38:39]
	s_wait_loadcnt 0x0
	v_add_nc_u64_e32 v[28:29], s[26:27], v[10:11]
.LBB10_18:                              ;   in Loop: Header=BB10_5 Depth=1
	s_wait_xcnt 0x0
	s_and_saveexec_b32 s7, s3
	s_cbranch_execz .LBB10_3
; %bb.19:                               ;   in Loop: Header=BB10_5 Depth=1
	s_lshl_b64 s[38:39], s[28:29], 3
	v_mov_b64_e32 v[10:11], 0
	s_add_nc_u64 s[38:39], s[20:21], s[38:39]
	v_cmp_ne_u32_e32 vcc_lo, 1, v8
	global_load_b64 v[24:25], v19, s[38:39]
	v_mov_b64_e32 v[8:9], 0
	s_cbranch_vccnz .LBB10_29
; %bb.20:                               ;   in Loop: Header=BB10_5 Depth=1
	v_mov_b64_e32 v[8:9], 0
	v_mov_b64_e32 v[10:11], 0
	s_wait_xcnt 0x0
	s_and_saveexec_b32 s30, s2
	s_cbranch_execz .LBB10_28
; %bb.21:                               ;   in Loop: Header=BB10_5 Depth=1
	v_add_nc_u64_e32 v[26:27], v[26:27], v[22:23]
	v_add_nc_u64_e32 v[28:29], v[28:29], v[20:21]
	v_mov_b64_e32 v[8:9], 0
	v_mov_b64_e32 v[10:11], 0
	v_dual_mov_b32 v15, v12 :: v_dual_mov_b32 v18, v30
	s_mov_b32 s37, 0
	s_branch .LBB10_24
.LBB10_22:                              ;   in Loop: Header=BB10_24 Depth=2
	s_wait_xcnt 0x0
	s_or_b32 exec_lo, exec_lo, s4
.LBB10_23:                              ;   in Loop: Header=BB10_24 Depth=2
	s_delay_alu instid0(SALU_CYCLE_1) | instskip(SKIP_4) | instid1(VALU_DEP_4)
	s_or_b32 exec_lo, exec_lo, s38
	v_add_nc_u32_e32 v18, 32, v18
	v_add_nc_u64_e32 v[26:27], 0x200, v[26:27]
	v_add_nc_u64_e32 v[28:29], s[34:35], v[28:29]
	v_subrev_nc_u32_e32 v15, 32, v15
	v_cmp_lt_i32_e32 vcc_lo, s5, v18
	s_or_b32 s37, vcc_lo, s37
	s_delay_alu instid0(SALU_CYCLE_1)
	s_and_not1_b32 exec_lo, exec_lo, s37
	s_cbranch_execz .LBB10_27
.LBB10_24:                              ;   Parent Loop BB10_5 Depth=1
                                        ; =>  This Inner Loop Header: Depth=2
	s_delay_alu instid0(VALU_DEP_1) | instskip(SKIP_1) | instid1(VALU_DEP_1)
	v_add_nc_u32_e32 v31, s6, v15
	s_mov_b32 s38, exec_lo
	v_cmpx_lt_i32_e64 v14, v31
	s_cbranch_execz .LBB10_23
; %bb.25:                               ;   in Loop: Header=BB10_24 Depth=2
	v_cmp_lt_i32_e32 vcc_lo, s31, v18
	v_cmp_ge_i32_e64 s4, v14, v15
	s_or_b32 s39, vcc_lo, s4
	s_delay_alu instid0(SALU_CYCLE_1)
	s_and_saveexec_b32 s4, s39
	s_cbranch_execz .LBB10_22
; %bb.26:                               ;   in Loop: Header=BB10_24 Depth=2
	flat_load_b128 v[32:35], v[26:27] offset:-8
	flat_load_b128 v[36:39], v[28:29] offset:-8
	s_wait_loadcnt_dscnt 0x101
	v_xor_b32_e32 v31, 0x80000000, v35
	s_delay_alu instid0(VALU_DEP_1) | instskip(SKIP_1) | instid1(VALU_DEP_1)
	v_cndmask_b32_e64 v35, v35, v31, s1
	s_wait_loadcnt_dscnt 0x0
	v_mul_f64_e32 v[40:41], v[34:35], v[38:39]
	v_mul_f64_e32 v[38:39], v[32:33], v[38:39]
	s_delay_alu instid0(VALU_DEP_2) | instskip(NEXT) | instid1(VALU_DEP_2)
	v_fma_f64 v[32:33], v[32:33], v[36:37], -v[40:41]
	v_fmac_f64_e32 v[38:39], v[34:35], v[36:37]
	s_delay_alu instid0(VALU_DEP_2) | instskip(NEXT) | instid1(VALU_DEP_2)
	v_add_f64_e32 v[10:11], v[10:11], v[32:33]
	v_add_f64_e32 v[8:9], v[8:9], v[38:39]
	s_branch .LBB10_22
.LBB10_27:                              ;   in Loop: Header=BB10_5 Depth=1
	s_or_b32 exec_lo, exec_lo, s37
.LBB10_28:                              ;   in Loop: Header=BB10_5 Depth=1
	s_delay_alu instid0(SALU_CYCLE_1)
	s_or_b32 exec_lo, exec_lo, s30
	v_lshl_or_b32 v15, v13, 2, 64
	v_cmp_gt_u32_e32 vcc_lo, 24, v13
	s_wait_loadcnt 0x0
	s_barrier_signal -1
	s_barrier_wait -1
	ds_bpermute_b32 v26, v15, v8
	ds_bpermute_b32 v27, v15, v9
	s_wait_dscnt 0x0
	v_add_f64_e32 v[8:9], v[8:9], v[26:27]
	ds_bpermute_b32 v26, v15, v10
	ds_bpermute_b32 v27, v15, v11
	v_cndmask_b32_e64 v15, 0, 8, vcc_lo
	v_cmp_gt_u32_e32 vcc_lo, 28, v13
	s_delay_alu instid0(VALU_DEP_2)
	v_add_lshl_u32 v15, v15, v13, 2
	s_wait_dscnt 0x0
	v_add_f64_e32 v[10:11], v[10:11], v[26:27]
	ds_bpermute_b32 v26, v15, v8
	ds_bpermute_b32 v27, v15, v9
	s_wait_dscnt 0x0
	v_add_f64_e32 v[8:9], v[8:9], v[26:27]
	ds_bpermute_b32 v26, v15, v10
	ds_bpermute_b32 v27, v15, v11
	v_cndmask_b32_e64 v15, 0, 4, vcc_lo
	v_cmp_gt_u32_e32 vcc_lo, 30, v13
	s_delay_alu instid0(VALU_DEP_2)
	v_add_lshl_u32 v15, v15, v13, 2
	s_wait_dscnt 0x0
	v_add_f64_e32 v[10:11], v[10:11], v[26:27]
	ds_bpermute_b32 v26, v15, v8
	ds_bpermute_b32 v27, v15, v9
	s_wait_dscnt 0x0
	v_add_f64_e32 v[8:9], v[8:9], v[26:27]
	ds_bpermute_b32 v26, v15, v10
	ds_bpermute_b32 v27, v15, v11
	v_cndmask_b32_e64 v15, 0, 2, vcc_lo
	v_cmp_ne_u32_e32 vcc_lo, 31, v13
	s_delay_alu instid0(VALU_DEP_2)
	v_add_lshl_u32 v15, v15, v13, 2
	s_wait_dscnt 0x0
	v_add_f64_e32 v[10:11], v[10:11], v[26:27]
	ds_bpermute_b32 v26, v15, v8
	ds_bpermute_b32 v27, v15, v9
	s_wait_dscnt 0x0
	v_add_f64_e32 v[8:9], v[8:9], v[26:27]
	ds_bpermute_b32 v26, v15, v10
	ds_bpermute_b32 v27, v15, v11
	v_add_co_ci_u32_e64 v15, null, 0, v13, vcc_lo
	s_delay_alu instid0(VALU_DEP_1)
	v_lshlrev_b32_e32 v15, 2, v15
	s_wait_dscnt 0x0
	v_add_f64_e32 v[10:11], v[10:11], v[26:27]
	ds_bpermute_b32 v26, v15, v8
	ds_bpermute_b32 v27, v15, v9
	s_wait_dscnt 0x0
	v_add_f64_e32 v[8:9], v[8:9], v[26:27]
	s_delay_alu instid0(VALU_DEP_1)
	v_mul_f64_e32 v[28:29], v[6:7], v[8:9]
	ds_bpermute_b32 v26, v15, v10
	ds_bpermute_b32 v27, v15, v11
	s_wait_dscnt 0x0
	v_add_f64_e32 v[26:27], v[10:11], v[26:27]
	v_mul_f64_e32 v[10:11], v[4:5], v[8:9]
	s_delay_alu instid0(VALU_DEP_2) | instskip(NEXT) | instid1(VALU_DEP_2)
	v_fma_f64 v[8:9], v[4:5], v[26:27], -v[28:29]
	v_fmac_f64_e32 v[10:11], v[6:7], v[26:27]
.LBB10_29:                              ;   in Loop: Header=BB10_5 Depth=1
	s_wait_xcnt 0x0
	s_and_b32 exec_lo, exec_lo, s0
	s_cbranch_execz .LBB10_3
; %bb.30:                               ;   in Loop: Header=BB10_5 Depth=1
	v_cmp_neq_f64_e32 vcc_lo, 0, v[0:1]
	v_cmp_neq_f64_e64 s4, 0, v[2:3]
	s_wait_loadcnt 0x0
	v_add_nc_u64_e32 v[4:5], s[22:23], v[24:25]
	s_delay_alu instid0(VALU_DEP_1) | instskip(SKIP_1) | instid1(SALU_CYCLE_1)
	v_lshl_add_u64 v[4:5], v[16:17], 4, v[4:5]
	s_or_b32 s4, vcc_lo, s4
	s_and_not1_b32 vcc_lo, exec_lo, s4
	s_cbranch_vccnz .LBB10_2
; %bb.31:                               ;   in Loop: Header=BB10_5 Depth=1
	flat_load_b128 v[24:27], v[4:5]
	s_wait_loadcnt_dscnt 0x0
	v_mul_f64_e32 v[6:7], v[2:3], v[26:27]
	v_mul_f64_e32 v[26:27], v[0:1], v[26:27]
	s_delay_alu instid0(VALU_DEP_2) | instskip(NEXT) | instid1(VALU_DEP_2)
	v_fma_f64 v[0:1], v[0:1], v[24:25], -v[6:7]
	v_fmac_f64_e32 v[26:27], v[2:3], v[24:25]
	s_delay_alu instid0(VALU_DEP_2) | instskip(NEXT) | instid1(VALU_DEP_2)
	v_add_f64_e32 v[8:9], v[8:9], v[0:1]
	v_add_f64_e32 v[10:11], v[10:11], v[26:27]
	s_branch .LBB10_2
.LBB10_32:
	s_endpgm
	.section	.rodata,"a",@progbits
	.p2align	6, 0x0
	.amdhsa_kernel _ZL20rocblas_gbmvt_kernelILi32ELi32E24rocblas_internal_val_ptrI19rocblas_complex_numIdEEPKPKS2_PKPS2_Evb18rocblas_operation_iiiiT1_T2_lllSD_lllSC_T3_llli
		.amdhsa_group_segment_fixed_size 0
		.amdhsa_private_segment_fixed_size 0
		.amdhsa_kernarg_size 156
		.amdhsa_user_sgpr_count 2
		.amdhsa_user_sgpr_dispatch_ptr 0
		.amdhsa_user_sgpr_queue_ptr 0
		.amdhsa_user_sgpr_kernarg_segment_ptr 1
		.amdhsa_user_sgpr_dispatch_id 0
		.amdhsa_user_sgpr_kernarg_preload_length 0
		.amdhsa_user_sgpr_kernarg_preload_offset 0
		.amdhsa_user_sgpr_private_segment_size 0
		.amdhsa_wavefront_size32 1
		.amdhsa_uses_dynamic_stack 0
		.amdhsa_enable_private_segment 0
		.amdhsa_system_sgpr_workgroup_id_x 1
		.amdhsa_system_sgpr_workgroup_id_y 0
		.amdhsa_system_sgpr_workgroup_id_z 1
		.amdhsa_system_sgpr_workgroup_info 0
		.amdhsa_system_vgpr_workitem_id 1
		.amdhsa_next_free_vgpr 42
		.amdhsa_next_free_sgpr 40
		.amdhsa_named_barrier_count 0
		.amdhsa_reserve_vcc 1
		.amdhsa_float_round_mode_32 0
		.amdhsa_float_round_mode_16_64 0
		.amdhsa_float_denorm_mode_32 3
		.amdhsa_float_denorm_mode_16_64 3
		.amdhsa_fp16_overflow 0
		.amdhsa_memory_ordered 1
		.amdhsa_forward_progress 1
		.amdhsa_inst_pref_size 12
		.amdhsa_round_robin_scheduling 0
		.amdhsa_exception_fp_ieee_invalid_op 0
		.amdhsa_exception_fp_denorm_src 0
		.amdhsa_exception_fp_ieee_div_zero 0
		.amdhsa_exception_fp_ieee_overflow 0
		.amdhsa_exception_fp_ieee_underflow 0
		.amdhsa_exception_fp_ieee_inexact 0
		.amdhsa_exception_int_div_zero 0
	.end_amdhsa_kernel
	.section	.text._ZL20rocblas_gbmvt_kernelILi32ELi32E24rocblas_internal_val_ptrI19rocblas_complex_numIdEEPKPKS2_PKPS2_Evb18rocblas_operation_iiiiT1_T2_lllSD_lllSC_T3_llli,"axG",@progbits,_ZL20rocblas_gbmvt_kernelILi32ELi32E24rocblas_internal_val_ptrI19rocblas_complex_numIdEEPKPKS2_PKPS2_Evb18rocblas_operation_iiiiT1_T2_lllSD_lllSC_T3_llli,comdat
.Lfunc_end10:
	.size	_ZL20rocblas_gbmvt_kernelILi32ELi32E24rocblas_internal_val_ptrI19rocblas_complex_numIdEEPKPKS2_PKPS2_Evb18rocblas_operation_iiiiT1_T2_lllSD_lllSC_T3_llli, .Lfunc_end10-_ZL20rocblas_gbmvt_kernelILi32ELi32E24rocblas_internal_val_ptrI19rocblas_complex_numIdEEPKPKS2_PKPS2_Evb18rocblas_operation_iiiiT1_T2_lllSD_lllSC_T3_llli
                                        ; -- End function
	.set _ZL20rocblas_gbmvt_kernelILi32ELi32E24rocblas_internal_val_ptrI19rocblas_complex_numIdEEPKPKS2_PKPS2_Evb18rocblas_operation_iiiiT1_T2_lllSD_lllSC_T3_llli.num_vgpr, 42
	.set _ZL20rocblas_gbmvt_kernelILi32ELi32E24rocblas_internal_val_ptrI19rocblas_complex_numIdEEPKPKS2_PKPS2_Evb18rocblas_operation_iiiiT1_T2_lllSD_lllSC_T3_llli.num_agpr, 0
	.set _ZL20rocblas_gbmvt_kernelILi32ELi32E24rocblas_internal_val_ptrI19rocblas_complex_numIdEEPKPKS2_PKPS2_Evb18rocblas_operation_iiiiT1_T2_lllSD_lllSC_T3_llli.numbered_sgpr, 40
	.set _ZL20rocblas_gbmvt_kernelILi32ELi32E24rocblas_internal_val_ptrI19rocblas_complex_numIdEEPKPKS2_PKPS2_Evb18rocblas_operation_iiiiT1_T2_lllSD_lllSC_T3_llli.num_named_barrier, 0
	.set _ZL20rocblas_gbmvt_kernelILi32ELi32E24rocblas_internal_val_ptrI19rocblas_complex_numIdEEPKPKS2_PKPS2_Evb18rocblas_operation_iiiiT1_T2_lllSD_lllSC_T3_llli.private_seg_size, 0
	.set _ZL20rocblas_gbmvt_kernelILi32ELi32E24rocblas_internal_val_ptrI19rocblas_complex_numIdEEPKPKS2_PKPS2_Evb18rocblas_operation_iiiiT1_T2_lllSD_lllSC_T3_llli.uses_vcc, 1
	.set _ZL20rocblas_gbmvt_kernelILi32ELi32E24rocblas_internal_val_ptrI19rocblas_complex_numIdEEPKPKS2_PKPS2_Evb18rocblas_operation_iiiiT1_T2_lllSD_lllSC_T3_llli.uses_flat_scratch, 0
	.set _ZL20rocblas_gbmvt_kernelILi32ELi32E24rocblas_internal_val_ptrI19rocblas_complex_numIdEEPKPKS2_PKPS2_Evb18rocblas_operation_iiiiT1_T2_lllSD_lllSC_T3_llli.has_dyn_sized_stack, 0
	.set _ZL20rocblas_gbmvt_kernelILi32ELi32E24rocblas_internal_val_ptrI19rocblas_complex_numIdEEPKPKS2_PKPS2_Evb18rocblas_operation_iiiiT1_T2_lllSD_lllSC_T3_llli.has_recursion, 0
	.set _ZL20rocblas_gbmvt_kernelILi32ELi32E24rocblas_internal_val_ptrI19rocblas_complex_numIdEEPKPKS2_PKPS2_Evb18rocblas_operation_iiiiT1_T2_lllSD_lllSC_T3_llli.has_indirect_call, 0
	.section	.AMDGPU.csdata,"",@progbits
; Kernel info:
; codeLenInByte = 1476
; TotalNumSgprs: 42
; NumVgprs: 42
; ScratchSize: 0
; MemoryBound: 0
; FloatMode: 240
; IeeeMode: 1
; LDSByteSize: 0 bytes/workgroup (compile time only)
; SGPRBlocks: 0
; VGPRBlocks: 2
; NumSGPRsForWavesPerEU: 42
; NumVGPRsForWavesPerEU: 42
; NamedBarCnt: 0
; Occupancy: 16
; WaveLimiterHint : 1
; COMPUTE_PGM_RSRC2:SCRATCH_EN: 0
; COMPUTE_PGM_RSRC2:USER_SGPR: 2
; COMPUTE_PGM_RSRC2:TRAP_HANDLER: 0
; COMPUTE_PGM_RSRC2:TGID_X_EN: 1
; COMPUTE_PGM_RSRC2:TGID_Y_EN: 0
; COMPUTE_PGM_RSRC2:TGID_Z_EN: 1
; COMPUTE_PGM_RSRC2:TIDIG_COMP_CNT: 1
	.section	.text._ZL20rocblas_gbmvt_kernelILi64ELi16E24rocblas_internal_val_ptrI19rocblas_complex_numIdEEPKPKS2_PKPS2_Evb18rocblas_operation_iiiiT1_T2_lllSD_lllSC_T3_llli,"axG",@progbits,_ZL20rocblas_gbmvt_kernelILi64ELi16E24rocblas_internal_val_ptrI19rocblas_complex_numIdEEPKPKS2_PKPS2_Evb18rocblas_operation_iiiiT1_T2_lllSD_lllSC_T3_llli,comdat
	.globl	_ZL20rocblas_gbmvt_kernelILi64ELi16E24rocblas_internal_val_ptrI19rocblas_complex_numIdEEPKPKS2_PKPS2_Evb18rocblas_operation_iiiiT1_T2_lllSD_lllSC_T3_llli ; -- Begin function _ZL20rocblas_gbmvt_kernelILi64ELi16E24rocblas_internal_val_ptrI19rocblas_complex_numIdEEPKPKS2_PKPS2_Evb18rocblas_operation_iiiiT1_T2_lllSD_lllSC_T3_llli
	.p2align	8
	.type	_ZL20rocblas_gbmvt_kernelILi64ELi16E24rocblas_internal_val_ptrI19rocblas_complex_numIdEEPKPKS2_PKPS2_Evb18rocblas_operation_iiiiT1_T2_lllSD_lllSC_T3_llli,@function
_ZL20rocblas_gbmvt_kernelILi64ELi16E24rocblas_internal_val_ptrI19rocblas_complex_numIdEEPKPKS2_PKPS2_Evb18rocblas_operation_iiiiT1_T2_lllSD_lllSC_T3_llli: ; @_ZL20rocblas_gbmvt_kernelILi64ELi16E24rocblas_internal_val_ptrI19rocblas_complex_numIdEEPKPKS2_PKPS2_Evb18rocblas_operation_iiiiT1_T2_lllSD_lllSC_T3_llli
; %bb.0:
	s_load_b32 s33, s[0:1], 0x98
	s_bfe_u32 s2, ttmp6, 0x40014
	s_lshr_b32 s3, ttmp7, 16
	s_add_co_i32 s2, s2, 1
	s_bfe_u32 s5, ttmp6, 0x40008
	s_mul_i32 s4, s3, s2
	s_getreg_b32 s2, hwreg(HW_REG_IB_STS2, 6, 4)
	s_add_co_i32 s5, s5, s4
	s_cmp_eq_u32 s2, 0
	s_mov_b32 s29, 0
	s_cselect_b32 s28, s3, s5
	s_wait_kmcnt 0x0
	s_cmp_ge_u32 s28, s33
	s_cbranch_scc1 .LBB11_32
; %bb.1:
	s_clause 0x2
	s_load_b128 s[4:7], s[0:1], 0x0
	s_load_b64 s[30:31], s[0:1], 0x10
	s_load_b64 s[8:9], s[0:1], 0x38
	v_bfe_u32 v1, v0, 10, 10
	v_and_b32_e32 v30, 0x3ff, v0
	v_mov_b32_e32 v19, 0
	s_load_b128 s[24:27], s[0:1], 0x48
	s_wait_kmcnt 0x0
	s_bitcmp1_b32 s4, 0
	v_sub_nc_u32_e32 v12, s31, v30
	s_cselect_b32 s3, -1, 0
	s_bfe_u32 s4, ttmp6, 0x4000c
	s_and_b32 s10, ttmp6, 15
	s_add_co_i32 s4, s4, 1
	s_xor_b32 s36, s3, -1
	s_mul_i32 s4, ttmp9, s4
	s_delay_alu instid0(SALU_CYCLE_1)
	s_add_co_i32 s10, s10, s4
	s_cmp_eq_u32 s2, 0
	s_load_b64 s[2:3], s[0:1], 0x58
	s_cselect_b32 s4, ttmp9, s10
	s_load_b64 s[10:11], s[0:1], 0x88
	v_lshl_add_u32 v14, s4, 4, v1
	v_ashrrev_i32_e32 v13, 31, v12
	s_cmp_eq_u32 s5, 0x71
	s_delay_alu instid0(VALU_DEP_2) | instskip(NEXT) | instid1(VALU_DEP_1)
	v_ashrrev_i32_e32 v15, 31, v14
	v_sub_nc_u64_e32 v[0:1], v[14:15], v[12:13]
	v_mul_u64_e32 v[2:3], s[8:9], v[14:15]
	v_mbcnt_lo_u32_b32 v13, -1, 0
	s_wait_kmcnt 0x0
	s_delay_alu instid0(VALU_DEP_3)
	v_mul_u64_e32 v[0:1], s[2:3], v[0:1]
	v_mul_u64_e32 v[16:17], s[10:11], v[14:15]
	s_clause 0x1
	s_load_b256 s[8:15], s[0:1], 0x18
	s_load_b256 s[16:23], s[0:1], 0x68
	s_wait_xcnt 0x0
	s_cselect_b32 s1, -1, 0
	s_add_co_i32 s5, s31, s30
	v_cmp_eq_u32_e64 s0, 0, v30
	s_lshl_b64 s[34:35], s[2:3], 10
	v_cmp_ge_i32_e64 s2, s5, v30
	v_cmp_gt_i32_e64 s3, s7, v14
	s_lshl_b64 s[26:27], s[26:27], 4
	s_wait_kmcnt 0x0
	s_lshl_b64 s[14:15], s[14:15], 4
	s_lshl_b64 s[22:23], s[22:23], 4
	v_lshlrev_b64_e32 v[20:21], 4, v[0:1]
	s_delay_alu instid0(VALU_DEP_1) | instskip(NEXT) | instid1(VALU_DEP_1)
	v_dual_lshlrev_b32 v18, 4, v30 :: v_dual_bitop2_b32 v20, 8, v20 bitop3:0x54
	v_lshl_add_u64 v[22:23], v[2:3], 4, v[18:19]
	s_delay_alu instid0(VALU_DEP_1)
	v_or_b32_e32 v22, 8, v22
	s_branch .LBB11_5
.LBB11_2:                               ;   in Loop: Header=BB11_5 Depth=1
	flat_store_b128 v[4:5], v[8:11]
.LBB11_3:                               ;   in Loop: Header=BB11_5 Depth=1
	s_wait_xcnt 0x0
	s_or_b32 exec_lo, exec_lo, s7
.LBB11_4:                               ;   in Loop: Header=BB11_5 Depth=1
	s_add_co_i32 s28, s28, 0x10000
	s_delay_alu instid0(SALU_CYCLE_1)
	s_cmp_lt_u32 s28, s33
	s_cbranch_scc0 .LBB11_32
.LBB11_5:                               ; =>This Loop Header: Depth=1
                                        ;     Child Loop BB11_24 Depth 2
	v_mov_b64_e32 v[6:7], s[10:11]
	v_mov_b64_e32 v[4:5], s[8:9]
	s_and_not1_b32 vcc_lo, exec_lo, s36
	s_cbranch_vccnz .LBB11_7
; %bb.6:                                ;   in Loop: Header=BB11_5 Depth=1
	global_load_b128 v[4:7], v19, s[8:9]
.LBB11_7:                               ;   in Loop: Header=BB11_5 Depth=1
	v_mov_b64_e32 v[2:3], s[18:19]
	v_mov_b64_e32 v[0:1], s[16:17]
	s_and_not1_b32 vcc_lo, exec_lo, s36
	s_cbranch_vccnz .LBB11_9
; %bb.8:                                ;   in Loop: Header=BB11_5 Depth=1
	global_load_b128 v[0:3], v19, s[16:17]
.LBB11_9:                               ;   in Loop: Header=BB11_5 Depth=1
	s_wait_loadcnt 0x0
	v_cmp_neq_f64_e32 vcc_lo, 0, v[4:5]
	v_cmp_neq_f64_e64 s4, 0, v[6:7]
	s_or_b32 s7, vcc_lo, s4
	s_delay_alu instid0(SALU_CYCLE_1)
	s_and_b32 vcc_lo, exec_lo, s7
	s_cbranch_vccnz .LBB11_12
; %bb.10:                               ;   in Loop: Header=BB11_5 Depth=1
	v_cmp_eq_f64_e32 vcc_lo, 1.0, v[0:1]
	v_cmp_eq_f64_e64 s4, 0, v[2:3]
	s_mov_b32 s30, 0
	s_and_b32 s4, vcc_lo, s4
	s_delay_alu instid0(SALU_CYCLE_1)
	s_and_not1_b32 vcc_lo, exec_lo, s4
	s_mov_b32 s4, 0
	s_cbranch_vccz .LBB11_13
; %bb.11:                               ;   in Loop: Header=BB11_5 Depth=1
	s_mov_b32 s4, -1
	s_branch .LBB11_13
.LBB11_12:                              ;   in Loop: Header=BB11_5 Depth=1
	s_mov_b32 s30, -1
	s_mov_b32 s4, 0
.LBB11_13:                              ;   in Loop: Header=BB11_5 Depth=1
	v_mov_b64_e32 v[26:27], 0
	s_and_b32 vcc_lo, exec_lo, s30
	s_cbranch_vccnz .LBB11_15
; %bb.14:                               ;   in Loop: Header=BB11_5 Depth=1
	s_and_not1_b32 vcc_lo, exec_lo, s4
	s_cbranch_vccnz .LBB11_4
	s_branch .LBB11_16
.LBB11_15:                              ;   in Loop: Header=BB11_5 Depth=1
	s_wait_xcnt 0x0
	s_lshl_b64 s[38:39], s[28:29], 3
	s_delay_alu instid0(SALU_CYCLE_1)
	s_add_nc_u64 s[38:39], s[12:13], s[38:39]
	global_load_b64 v[8:9], v19, s[38:39]
	s_wait_loadcnt 0x0
	v_add_nc_u64_e32 v[26:27], s[14:15], v[8:9]
.LBB11_16:                              ;   in Loop: Header=BB11_5 Depth=1
	v_mov_b64_e32 v[28:29], 0
	v_cndmask_b32_e64 v8, 0, 1, s7
	s_and_not1_b32 vcc_lo, exec_lo, s7
	s_cbranch_vccnz .LBB11_18
; %bb.17:                               ;   in Loop: Header=BB11_5 Depth=1
	s_wait_xcnt 0x0
	s_lshl_b64 s[38:39], s[28:29], 3
	s_delay_alu instid0(SALU_CYCLE_1)
	s_add_nc_u64 s[38:39], s[24:25], s[38:39]
	global_load_b64 v[10:11], v19, s[38:39]
	s_wait_loadcnt 0x0
	v_add_nc_u64_e32 v[28:29], s[26:27], v[10:11]
.LBB11_18:                              ;   in Loop: Header=BB11_5 Depth=1
	s_wait_xcnt 0x0
	s_and_saveexec_b32 s7, s3
	s_cbranch_execz .LBB11_3
; %bb.19:                               ;   in Loop: Header=BB11_5 Depth=1
	s_lshl_b64 s[38:39], s[28:29], 3
	v_mov_b64_e32 v[10:11], 0
	s_add_nc_u64 s[38:39], s[20:21], s[38:39]
	v_cmp_ne_u32_e32 vcc_lo, 1, v8
	global_load_b64 v[24:25], v19, s[38:39]
	v_mov_b64_e32 v[8:9], 0
	s_cbranch_vccnz .LBB11_29
; %bb.20:                               ;   in Loop: Header=BB11_5 Depth=1
	v_mov_b64_e32 v[8:9], 0
	v_mov_b64_e32 v[10:11], 0
	s_wait_xcnt 0x0
	s_and_saveexec_b32 s30, s2
	s_cbranch_execz .LBB11_28
; %bb.21:                               ;   in Loop: Header=BB11_5 Depth=1
	v_add_nc_u64_e32 v[26:27], v[26:27], v[22:23]
	v_add_nc_u64_e32 v[28:29], v[28:29], v[20:21]
	v_mov_b64_e32 v[8:9], 0
	v_mov_b64_e32 v[10:11], 0
	v_dual_mov_b32 v15, v12 :: v_dual_mov_b32 v18, v30
	s_mov_b32 s37, 0
	s_branch .LBB11_24
.LBB11_22:                              ;   in Loop: Header=BB11_24 Depth=2
	s_wait_xcnt 0x0
	s_or_b32 exec_lo, exec_lo, s4
.LBB11_23:                              ;   in Loop: Header=BB11_24 Depth=2
	s_delay_alu instid0(SALU_CYCLE_1) | instskip(SKIP_4) | instid1(VALU_DEP_4)
	s_or_b32 exec_lo, exec_lo, s38
	v_add_nc_u32_e32 v18, 64, v18
	v_add_nc_u64_e32 v[26:27], 0x400, v[26:27]
	v_add_nc_u64_e32 v[28:29], s[34:35], v[28:29]
	v_subrev_nc_u32_e32 v15, 64, v15
	v_cmp_lt_i32_e32 vcc_lo, s5, v18
	s_or_b32 s37, vcc_lo, s37
	s_delay_alu instid0(SALU_CYCLE_1)
	s_and_not1_b32 exec_lo, exec_lo, s37
	s_cbranch_execz .LBB11_27
.LBB11_24:                              ;   Parent Loop BB11_5 Depth=1
                                        ; =>  This Inner Loop Header: Depth=2
	s_delay_alu instid0(VALU_DEP_1) | instskip(SKIP_1) | instid1(VALU_DEP_1)
	v_add_nc_u32_e32 v31, s6, v15
	s_mov_b32 s38, exec_lo
	v_cmpx_lt_i32_e64 v14, v31
	s_cbranch_execz .LBB11_23
; %bb.25:                               ;   in Loop: Header=BB11_24 Depth=2
	v_cmp_lt_i32_e32 vcc_lo, s31, v18
	v_cmp_ge_i32_e64 s4, v14, v15
	s_or_b32 s39, vcc_lo, s4
	s_delay_alu instid0(SALU_CYCLE_1)
	s_and_saveexec_b32 s4, s39
	s_cbranch_execz .LBB11_22
; %bb.26:                               ;   in Loop: Header=BB11_24 Depth=2
	flat_load_b128 v[32:35], v[26:27] offset:-8
	flat_load_b128 v[36:39], v[28:29] offset:-8
	s_wait_loadcnt_dscnt 0x101
	v_xor_b32_e32 v31, 0x80000000, v35
	s_delay_alu instid0(VALU_DEP_1) | instskip(SKIP_1) | instid1(VALU_DEP_1)
	v_cndmask_b32_e64 v35, v35, v31, s1
	s_wait_loadcnt_dscnt 0x0
	v_mul_f64_e32 v[40:41], v[34:35], v[38:39]
	v_mul_f64_e32 v[38:39], v[32:33], v[38:39]
	s_delay_alu instid0(VALU_DEP_2) | instskip(NEXT) | instid1(VALU_DEP_2)
	v_fma_f64 v[32:33], v[32:33], v[36:37], -v[40:41]
	v_fmac_f64_e32 v[38:39], v[34:35], v[36:37]
	s_delay_alu instid0(VALU_DEP_2) | instskip(NEXT) | instid1(VALU_DEP_2)
	v_add_f64_e32 v[10:11], v[10:11], v[32:33]
	v_add_f64_e32 v[8:9], v[8:9], v[38:39]
	s_branch .LBB11_22
.LBB11_27:                              ;   in Loop: Header=BB11_5 Depth=1
	s_or_b32 exec_lo, exec_lo, s37
.LBB11_28:                              ;   in Loop: Header=BB11_5 Depth=1
	s_delay_alu instid0(SALU_CYCLE_1)
	s_or_b32 exec_lo, exec_lo, s30
	v_lshlrev_b32_e32 v15, 2, v13
	v_cmp_gt_u32_e32 vcc_lo, 24, v13
	s_wait_loadcnt 0x0
	s_barrier_signal -1
	s_barrier_wait -1
	ds_bpermute_b32 v26, v15, v8
	ds_bpermute_b32 v27, v15, v9
	s_wait_dscnt 0x0
	v_add_f64_e32 v[8:9], v[8:9], v[26:27]
	ds_bpermute_b32 v26, v15, v10
	ds_bpermute_b32 v27, v15, v11
	v_or_b32_e32 v15, 64, v15
	s_wait_dscnt 0x0
	v_add_f64_e32 v[10:11], v[10:11], v[26:27]
	ds_bpermute_b32 v26, v15, v8
	ds_bpermute_b32 v27, v15, v9
	s_wait_dscnt 0x0
	v_add_f64_e32 v[8:9], v[8:9], v[26:27]
	ds_bpermute_b32 v26, v15, v10
	ds_bpermute_b32 v27, v15, v11
	v_cndmask_b32_e64 v15, 0, 8, vcc_lo
	v_cmp_gt_u32_e32 vcc_lo, 28, v13
	s_delay_alu instid0(VALU_DEP_2)
	v_add_lshl_u32 v15, v15, v13, 2
	s_wait_dscnt 0x0
	v_add_f64_e32 v[10:11], v[10:11], v[26:27]
	ds_bpermute_b32 v26, v15, v8
	ds_bpermute_b32 v27, v15, v9
	s_wait_dscnt 0x0
	v_add_f64_e32 v[8:9], v[8:9], v[26:27]
	ds_bpermute_b32 v26, v15, v10
	ds_bpermute_b32 v27, v15, v11
	v_cndmask_b32_e64 v15, 0, 4, vcc_lo
	v_cmp_gt_u32_e32 vcc_lo, 30, v13
	s_delay_alu instid0(VALU_DEP_2)
	v_add_lshl_u32 v15, v15, v13, 2
	s_wait_dscnt 0x0
	v_add_f64_e32 v[10:11], v[10:11], v[26:27]
	ds_bpermute_b32 v26, v15, v8
	ds_bpermute_b32 v27, v15, v9
	s_wait_dscnt 0x0
	v_add_f64_e32 v[8:9], v[8:9], v[26:27]
	ds_bpermute_b32 v26, v15, v10
	ds_bpermute_b32 v27, v15, v11
	v_cndmask_b32_e64 v15, 0, 2, vcc_lo
	v_cmp_ne_u32_e32 vcc_lo, 31, v13
	s_delay_alu instid0(VALU_DEP_2)
	v_add_lshl_u32 v15, v15, v13, 2
	s_wait_dscnt 0x0
	v_add_f64_e32 v[10:11], v[10:11], v[26:27]
	ds_bpermute_b32 v26, v15, v8
	ds_bpermute_b32 v27, v15, v9
	s_wait_dscnt 0x0
	v_add_f64_e32 v[8:9], v[8:9], v[26:27]
	ds_bpermute_b32 v26, v15, v10
	ds_bpermute_b32 v27, v15, v11
	v_add_co_ci_u32_e64 v15, null, 0, v13, vcc_lo
	s_delay_alu instid0(VALU_DEP_1)
	v_lshlrev_b32_e32 v15, 2, v15
	s_wait_dscnt 0x0
	v_add_f64_e32 v[10:11], v[10:11], v[26:27]
	ds_bpermute_b32 v26, v15, v8
	ds_bpermute_b32 v27, v15, v9
	s_wait_dscnt 0x0
	v_add_f64_e32 v[8:9], v[8:9], v[26:27]
	ds_bpermute_b32 v26, v15, v10
	ds_bpermute_b32 v27, v15, v11
	s_wait_dscnt 0x0
	v_add_f64_e32 v[26:27], v[10:11], v[26:27]
	v_mul_f64_e32 v[28:29], v[6:7], v[8:9]
	v_mul_f64_e32 v[10:11], v[4:5], v[8:9]
	s_delay_alu instid0(VALU_DEP_2) | instskip(NEXT) | instid1(VALU_DEP_2)
	v_fma_f64 v[8:9], v[4:5], v[26:27], -v[28:29]
	v_fmac_f64_e32 v[10:11], v[6:7], v[26:27]
.LBB11_29:                              ;   in Loop: Header=BB11_5 Depth=1
	s_wait_xcnt 0x0
	s_and_b32 exec_lo, exec_lo, s0
	s_cbranch_execz .LBB11_3
; %bb.30:                               ;   in Loop: Header=BB11_5 Depth=1
	v_cmp_neq_f64_e32 vcc_lo, 0, v[0:1]
	v_cmp_neq_f64_e64 s4, 0, v[2:3]
	s_wait_loadcnt 0x0
	v_add_nc_u64_e32 v[4:5], s[22:23], v[24:25]
	s_delay_alu instid0(VALU_DEP_1) | instskip(SKIP_1) | instid1(SALU_CYCLE_1)
	v_lshl_add_u64 v[4:5], v[16:17], 4, v[4:5]
	s_or_b32 s4, vcc_lo, s4
	s_and_not1_b32 vcc_lo, exec_lo, s4
	s_cbranch_vccnz .LBB11_2
; %bb.31:                               ;   in Loop: Header=BB11_5 Depth=1
	flat_load_b128 v[24:27], v[4:5]
	s_wait_loadcnt_dscnt 0x0
	v_mul_f64_e32 v[6:7], v[2:3], v[26:27]
	v_mul_f64_e32 v[26:27], v[0:1], v[26:27]
	s_delay_alu instid0(VALU_DEP_2) | instskip(NEXT) | instid1(VALU_DEP_2)
	v_fma_f64 v[0:1], v[0:1], v[24:25], -v[6:7]
	v_fmac_f64_e32 v[26:27], v[2:3], v[24:25]
	s_delay_alu instid0(VALU_DEP_2) | instskip(NEXT) | instid1(VALU_DEP_2)
	v_add_f64_e32 v[8:9], v[8:9], v[0:1]
	v_add_f64_e32 v[10:11], v[10:11], v[26:27]
	s_branch .LBB11_2
.LBB11_32:
	s_endpgm
	.section	.rodata,"a",@progbits
	.p2align	6, 0x0
	.amdhsa_kernel _ZL20rocblas_gbmvt_kernelILi64ELi16E24rocblas_internal_val_ptrI19rocblas_complex_numIdEEPKPKS2_PKPS2_Evb18rocblas_operation_iiiiT1_T2_lllSD_lllSC_T3_llli
		.amdhsa_group_segment_fixed_size 0
		.amdhsa_private_segment_fixed_size 0
		.amdhsa_kernarg_size 156
		.amdhsa_user_sgpr_count 2
		.amdhsa_user_sgpr_dispatch_ptr 0
		.amdhsa_user_sgpr_queue_ptr 0
		.amdhsa_user_sgpr_kernarg_segment_ptr 1
		.amdhsa_user_sgpr_dispatch_id 0
		.amdhsa_user_sgpr_kernarg_preload_length 0
		.amdhsa_user_sgpr_kernarg_preload_offset 0
		.amdhsa_user_sgpr_private_segment_size 0
		.amdhsa_wavefront_size32 1
		.amdhsa_uses_dynamic_stack 0
		.amdhsa_enable_private_segment 0
		.amdhsa_system_sgpr_workgroup_id_x 1
		.amdhsa_system_sgpr_workgroup_id_y 0
		.amdhsa_system_sgpr_workgroup_id_z 1
		.amdhsa_system_sgpr_workgroup_info 0
		.amdhsa_system_vgpr_workitem_id 1
		.amdhsa_next_free_vgpr 42
		.amdhsa_next_free_sgpr 40
		.amdhsa_named_barrier_count 0
		.amdhsa_reserve_vcc 1
		.amdhsa_float_round_mode_32 0
		.amdhsa_float_round_mode_16_64 0
		.amdhsa_float_denorm_mode_32 3
		.amdhsa_float_denorm_mode_16_64 3
		.amdhsa_fp16_overflow 0
		.amdhsa_memory_ordered 1
		.amdhsa_forward_progress 1
		.amdhsa_inst_pref_size 12
		.amdhsa_round_robin_scheduling 0
		.amdhsa_exception_fp_ieee_invalid_op 0
		.amdhsa_exception_fp_denorm_src 0
		.amdhsa_exception_fp_ieee_div_zero 0
		.amdhsa_exception_fp_ieee_overflow 0
		.amdhsa_exception_fp_ieee_underflow 0
		.amdhsa_exception_fp_ieee_inexact 0
		.amdhsa_exception_int_div_zero 0
	.end_amdhsa_kernel
	.section	.text._ZL20rocblas_gbmvt_kernelILi64ELi16E24rocblas_internal_val_ptrI19rocblas_complex_numIdEEPKPKS2_PKPS2_Evb18rocblas_operation_iiiiT1_T2_lllSD_lllSC_T3_llli,"axG",@progbits,_ZL20rocblas_gbmvt_kernelILi64ELi16E24rocblas_internal_val_ptrI19rocblas_complex_numIdEEPKPKS2_PKPS2_Evb18rocblas_operation_iiiiT1_T2_lllSD_lllSC_T3_llli,comdat
.Lfunc_end11:
	.size	_ZL20rocblas_gbmvt_kernelILi64ELi16E24rocblas_internal_val_ptrI19rocblas_complex_numIdEEPKPKS2_PKPS2_Evb18rocblas_operation_iiiiT1_T2_lllSD_lllSC_T3_llli, .Lfunc_end11-_ZL20rocblas_gbmvt_kernelILi64ELi16E24rocblas_internal_val_ptrI19rocblas_complex_numIdEEPKPKS2_PKPS2_Evb18rocblas_operation_iiiiT1_T2_lllSD_lllSC_T3_llli
                                        ; -- End function
	.set _ZL20rocblas_gbmvt_kernelILi64ELi16E24rocblas_internal_val_ptrI19rocblas_complex_numIdEEPKPKS2_PKPS2_Evb18rocblas_operation_iiiiT1_T2_lllSD_lllSC_T3_llli.num_vgpr, 42
	.set _ZL20rocblas_gbmvt_kernelILi64ELi16E24rocblas_internal_val_ptrI19rocblas_complex_numIdEEPKPKS2_PKPS2_Evb18rocblas_operation_iiiiT1_T2_lllSD_lllSC_T3_llli.num_agpr, 0
	.set _ZL20rocblas_gbmvt_kernelILi64ELi16E24rocblas_internal_val_ptrI19rocblas_complex_numIdEEPKPKS2_PKPS2_Evb18rocblas_operation_iiiiT1_T2_lllSD_lllSC_T3_llli.numbered_sgpr, 40
	.set _ZL20rocblas_gbmvt_kernelILi64ELi16E24rocblas_internal_val_ptrI19rocblas_complex_numIdEEPKPKS2_PKPS2_Evb18rocblas_operation_iiiiT1_T2_lllSD_lllSC_T3_llli.num_named_barrier, 0
	.set _ZL20rocblas_gbmvt_kernelILi64ELi16E24rocblas_internal_val_ptrI19rocblas_complex_numIdEEPKPKS2_PKPS2_Evb18rocblas_operation_iiiiT1_T2_lllSD_lllSC_T3_llli.private_seg_size, 0
	.set _ZL20rocblas_gbmvt_kernelILi64ELi16E24rocblas_internal_val_ptrI19rocblas_complex_numIdEEPKPKS2_PKPS2_Evb18rocblas_operation_iiiiT1_T2_lllSD_lllSC_T3_llli.uses_vcc, 1
	.set _ZL20rocblas_gbmvt_kernelILi64ELi16E24rocblas_internal_val_ptrI19rocblas_complex_numIdEEPKPKS2_PKPS2_Evb18rocblas_operation_iiiiT1_T2_lllSD_lllSC_T3_llli.uses_flat_scratch, 0
	.set _ZL20rocblas_gbmvt_kernelILi64ELi16E24rocblas_internal_val_ptrI19rocblas_complex_numIdEEPKPKS2_PKPS2_Evb18rocblas_operation_iiiiT1_T2_lllSD_lllSC_T3_llli.has_dyn_sized_stack, 0
	.set _ZL20rocblas_gbmvt_kernelILi64ELi16E24rocblas_internal_val_ptrI19rocblas_complex_numIdEEPKPKS2_PKPS2_Evb18rocblas_operation_iiiiT1_T2_lllSD_lllSC_T3_llli.has_recursion, 0
	.set _ZL20rocblas_gbmvt_kernelILi64ELi16E24rocblas_internal_val_ptrI19rocblas_complex_numIdEEPKPKS2_PKPS2_Evb18rocblas_operation_iiiiT1_T2_lllSD_lllSC_T3_llli.has_indirect_call, 0
	.section	.AMDGPU.csdata,"",@progbits
; Kernel info:
; codeLenInByte = 1520
; TotalNumSgprs: 42
; NumVgprs: 42
; ScratchSize: 0
; MemoryBound: 0
; FloatMode: 240
; IeeeMode: 1
; LDSByteSize: 0 bytes/workgroup (compile time only)
; SGPRBlocks: 0
; VGPRBlocks: 2
; NumSGPRsForWavesPerEU: 42
; NumVGPRsForWavesPerEU: 42
; NamedBarCnt: 0
; Occupancy: 16
; WaveLimiterHint : 1
; COMPUTE_PGM_RSRC2:SCRATCH_EN: 0
; COMPUTE_PGM_RSRC2:USER_SGPR: 2
; COMPUTE_PGM_RSRC2:TRAP_HANDLER: 0
; COMPUTE_PGM_RSRC2:TGID_X_EN: 1
; COMPUTE_PGM_RSRC2:TGID_Y_EN: 0
; COMPUTE_PGM_RSRC2:TGID_Z_EN: 1
; COMPUTE_PGM_RSRC2:TIDIG_COMP_CNT: 1
	.section	.text._ZL20rocblas_gbmvn_kernelILi32ELi32E24rocblas_internal_val_ptrIfEPKfPfEvbiiiiT1_T2_lllS6_lllS5_T3_llli,"axG",@progbits,_ZL20rocblas_gbmvn_kernelILi32ELi32E24rocblas_internal_val_ptrIfEPKfPfEvbiiiiT1_T2_lllS6_lllS5_T3_llli,comdat
	.globl	_ZL20rocblas_gbmvn_kernelILi32ELi32E24rocblas_internal_val_ptrIfEPKfPfEvbiiiiT1_T2_lllS6_lllS5_T3_llli ; -- Begin function _ZL20rocblas_gbmvn_kernelILi32ELi32E24rocblas_internal_val_ptrIfEPKfPfEvbiiiiT1_T2_lllS6_lllS5_T3_llli
	.p2align	8
	.type	_ZL20rocblas_gbmvn_kernelILi32ELi32E24rocblas_internal_val_ptrIfEPKfPfEvbiiiiT1_T2_lllS6_lllS5_T3_llli,@function
_ZL20rocblas_gbmvn_kernelILi32ELi32E24rocblas_internal_val_ptrIfEPKfPfEvbiiiiT1_T2_lllS6_lllS5_T3_llli: ; @_ZL20rocblas_gbmvn_kernelILi32ELi32E24rocblas_internal_val_ptrIfEPKfPfEvbiiiiT1_T2_lllS6_lllS5_T3_llli
; %bb.0:
	s_load_b512 s[4:19], s[2:3], 0x18
	s_load_b64 s[28:29], s[0:1], 0x4
	s_load_b256 s[20:27], s[2:3], 0x58
	v_bfe_u32 v1, v0, 10, 10
	s_load_b32 s33, s[2:3], 0x88
	v_and_b32_e32 v2, 0x3ff, v0
	s_wait_xcnt 0x0
	s_lshr_b32 s1, ttmp7, 16
	v_bfe_u32 v0, v0, 20, 10
	s_wait_kmcnt 0x0
	v_dual_mov_b32 v4, s4 :: v_dual_mov_b32 v5, s5
	v_mul_u32_u24_e32 v3, s29, v1
	s_lshr_b32 s0, s28, 16
	s_bfe_u32 s5, ttmp6, 0x40008
	s_mul_i32 s0, s0, s29
	v_dual_mov_b32 v6, s22 :: v_dual_mov_b32 v7, s23
	v_mad_u32 v3, s0, v2, v3
	s_bfe_u32 s0, ttmp6, 0x40014
	s_delay_alu instid0(SALU_CYCLE_1) | instskip(NEXT) | instid1(SALU_CYCLE_1)
	s_add_co_i32 s0, s0, 1
	s_mul_i32 s4, s1, s0
	s_getreg_b32 s0, hwreg(HW_REG_IB_STS2, 6, 4)
	s_add_co_i32 s5, s5, s4
	s_cmp_eq_u32 s0, 0
	s_cselect_b32 s4, s1, s5
	s_delay_alu instid0(VALU_DEP_1)
	v_add_lshl_u32 v14, v3, v0, 3
	s_cmp_ge_u32 s4, s33
	s_mov_b32 s5, 0
	ds_store_2addr_stride64_b64 v14, v[6:7], v[4:5] offset1:16
	s_cbranch_scc1 .LBB12_25
; %bb.1:
	s_clause 0x2
	s_load_b128 s[28:31], s[2:3], 0x0
	s_load_b32 s1, s[2:3], 0x10
	s_load_b128 s[36:39], s[2:3], 0x78
	v_mbcnt_lo_u32_b32 v15, -1, 0
	v_mov_b32_e32 v3, 0
	s_wait_kmcnt 0x0
	s_bitcmp1_b32 s28, 0
	s_cselect_b32 s22, -1, 0
	s_bfe_u32 s23, ttmp6, 0x4000c
	s_and_b32 s28, ttmp6, 15
	s_add_co_i32 s23, s23, 1
	s_lshl_b64 s[26:27], s[26:27], 2
	s_mul_i32 s23, ttmp9, s23
	s_xor_b32 s22, s22, -1
	s_add_co_i32 s28, s28, s23
	s_cmp_eq_u32 s0, 0
	s_add_nc_u64 s[24:25], s[24:25], s[26:27]
	s_cselect_b32 s0, ttmp9, s28
	s_lshl_b64 s[8:9], s[8:9], 2
	v_lshl_add_u32 v4, s0, 5, v1
	v_cmp_eq_u32_e64 s0, 0, v2
	s_lshl_b64 s[2:3], s[16:17], 2
	s_lshl_b64 s[16:17], s[18:19], 7
	v_subrev_nc_u32_e32 v0, s31, v4
	v_ashrrev_i32_e32 v5, 31, v4
	s_delay_alu instid0(VALU_DEP_2) | instskip(NEXT) | instid1(VALU_DEP_2)
	v_max_i32_e32 v0, 0, v0
	v_mul_u64_e32 v[8:9], s[36:37], v[4:5]
	s_delay_alu instid0(VALU_DEP_2) | instskip(SKIP_2) | instid1(VALU_DEP_2)
	v_dual_add_nc_u32 v0, v0, v2 :: v_dual_min_i32 v5, s31, v4
	v_sub_nc_u32_e32 v2, s1, v2
	v_cmp_gt_i32_e64 s1, s29, v4
	v_dual_ashrrev_i32 v1, 31, v0 :: v_dual_add_nc_u32 v2, v2, v5
	s_delay_alu instid0(VALU_DEP_1)
	v_mul_u64_e32 v[6:7], s[10:11], v[0:1]
	v_mul_u64_e32 v[10:11], s[18:19], v[0:1]
	s_lshl_b64 s[18:19], s[10:11], 7
	s_add_nc_u64 s[10:11], s[14:15], s[2:3]
	v_add_nc_u32_e32 v1, 0x2000, v14
	v_cmp_lt_i32_e64 s2, -1, v2
	s_mov_b64 s[14:15], 0xffffffffffffff80
	v_lshl_add_u64 v[4:5], v[8:9], 2, s[24:25]
	v_lshl_add_u64 v[6:7], v[6:7], 2, s[8:9]
	s_lshl_b64 s[8:9], s[20:21], 2
	s_delay_alu instid0(VALU_DEP_1)
	v_lshl_add_u64 v[12:13], v[2:3], 2, v[6:7]
	v_lshl_add_u64 v[6:7], v[10:11], 2, s[10:11]
	v_lshl_or_b32 v3, v15, 2, 64
	s_lshl_b64 s[10:11], s[12:13], 2
	s_add_nc_u64 s[12:13], s[18:19], s[14:15]
	v_add_nc_u64_e32 v[8:9], s[6:7], v[12:13]
	s_mov_b64 s[6:7], 0xffffffffffffffe0
	s_branch .LBB12_4
.LBB12_2:                               ;   in Loop: Header=BB12_4 Depth=1
	s_wait_xcnt 0x0
	s_or_b32 exec_lo, exec_lo, s14
	global_store_b32 v[10:11], v12, off
.LBB12_3:                               ;   in Loop: Header=BB12_4 Depth=1
	s_wait_xcnt 0x0
	s_or_b32 exec_lo, exec_lo, s3
	s_add_co_i32 s4, s4, 0x10000
	s_delay_alu instid0(SALU_CYCLE_1)
	s_cmp_lt_u32 s4, s33
	s_cbranch_scc0 .LBB12_25
.LBB12_4:                               ; =>This Loop Header: Depth=1
                                        ;     Child Loop BB12_15 Depth 2
	s_and_b32 vcc_lo, exec_lo, s22
	s_mov_b32 s3, -1
                                        ; implicit-def: $vgpr16
	s_cbranch_vccnz .LBB12_17
; %bb.5:                                ;   in Loop: Header=BB12_4 Depth=1
	s_and_not1_b32 vcc_lo, exec_lo, s3
	s_cbranch_vccz .LBB12_18
.LBB12_6:                               ;   in Loop: Header=BB12_4 Depth=1
	s_and_b32 vcc_lo, exec_lo, s22
	s_mov_b32 s3, -1
                                        ; implicit-def: $vgpr17
	s_cbranch_vccnz .LBB12_19
.LBB12_7:                               ;   in Loop: Header=BB12_4 Depth=1
	s_and_not1_b32 vcc_lo, exec_lo, s3
	s_cbranch_vccnz .LBB12_9
.LBB12_8:                               ;   in Loop: Header=BB12_4 Depth=1
	s_wait_loadcnt_dscnt 0x0
	ds_load_b32 v17, v14
.LBB12_9:                               ;   in Loop: Header=BB12_4 Depth=1
	s_wait_loadcnt_dscnt 0x0
	v_cmp_neq_f32_e32 vcc_lo, 0, v16
	v_cmp_neq_f32_e64 s3, 1.0, v17
	s_or_b32 s14, vcc_lo, s3
	s_wait_xcnt 0x0
	s_and_saveexec_b32 s3, s14
	s_cbranch_execz .LBB12_3
; %bb.10:                               ;   in Loop: Header=BB12_4 Depth=1
	s_and_b32 exec_lo, exec_lo, s1
	s_cbranch_execz .LBB12_3
; %bb.11:                               ;   in Loop: Header=BB12_4 Depth=1
	v_mov_b32_e32 v12, 0
	s_mov_b32 s18, exec_lo
	v_cmpx_neq_f32_e32 0, v16
	s_cbranch_execz .LBB12_22
; %bb.12:                               ;   in Loop: Header=BB12_4 Depth=1
	v_mov_b32_e32 v18, 0
	s_and_saveexec_b32 s19, s2
	s_cbranch_execz .LBB12_21
; %bb.13:                               ;   in Loop: Header=BB12_4 Depth=1
	v_mad_nc_u64_u32 v[10:11], s8, s4, v[6:7]
	v_mad_nc_u64_u32 v[12:13], s10, s4, v[8:9]
	v_dual_mov_b32 v18, 0 :: v_dual_mov_b32 v19, v0
	s_mov_b64 s[14:15], 0
	s_mov_b32 s20, 0
	s_delay_alu instid0(VALU_DEP_3) | instskip(NEXT) | instid1(VALU_DEP_3)
	v_mad_u32 v11, s9, s4, v11
	v_mad_u32 v13, s11, s4, v13
	s_branch .LBB12_15
.LBB12_14:                              ;   in Loop: Header=BB12_15 Depth=2
	s_wait_xcnt 0x0
	s_or_b32 exec_lo, exec_lo, s21
	s_add_nc_u64 s[14:15], s[14:15], s[6:7]
	s_delay_alu instid0(VALU_DEP_3) | instskip(SKIP_1) | instid1(VALU_DEP_4)
	v_add_nc_u64_e32 v[10:11], s[16:17], v[10:11]
	v_add3_u32 v20, v2, s14, 32
	v_add_nc_u64_e32 v[12:13], s[12:13], v[12:13]
	v_add_nc_u32_e32 v19, 32, v19
	s_delay_alu instid0(VALU_DEP_3) | instskip(SKIP_1) | instid1(SALU_CYCLE_1)
	v_cmp_gt_u32_e32 vcc_lo, 32, v20
	s_or_b32 s20, vcc_lo, s20
	s_and_not1_b32 exec_lo, exec_lo, s20
	s_cbranch_execz .LBB12_20
.LBB12_15:                              ;   Parent Loop BB12_4 Depth=1
                                        ; =>  This Inner Loop Header: Depth=2
	s_mov_b32 s21, exec_lo
	v_cmpx_gt_i32_e64 s30, v19
	s_cbranch_execz .LBB12_14
; %bb.16:                               ;   in Loop: Header=BB12_15 Depth=2
	global_load_b32 v20, v[12:13], off
	global_load_b32 v21, v[10:11], off
	s_wait_loadcnt 0x0
	v_fmac_f32_e32 v18, v20, v21
	s_branch .LBB12_14
.LBB12_17:                              ;   in Loop: Header=BB12_4 Depth=1
	ds_load_b64 v[10:11], v1
	s_wait_dscnt 0x0
	flat_load_b32 v16, v[10:11]
	s_cbranch_execnz .LBB12_6
.LBB12_18:                              ;   in Loop: Header=BB12_4 Depth=1
	s_wait_loadcnt_dscnt 0x0
	ds_load_b32 v16, v1
	s_and_b32 vcc_lo, exec_lo, s22
	s_mov_b32 s3, -1
                                        ; implicit-def: $vgpr17
	s_cbranch_vccz .LBB12_7
.LBB12_19:                              ;   in Loop: Header=BB12_4 Depth=1
	s_wait_xcnt 0x0
	ds_load_b64 v[10:11], v14
	s_wait_dscnt 0x0
	flat_load_b32 v17, v[10:11]
	s_cbranch_execz .LBB12_8
	s_branch .LBB12_9
.LBB12_20:                              ;   in Loop: Header=BB12_4 Depth=1
	s_or_b32 exec_lo, exec_lo, s20
.LBB12_21:                              ;   in Loop: Header=BB12_4 Depth=1
	s_delay_alu instid0(SALU_CYCLE_1)
	s_or_b32 exec_lo, exec_lo, s19
	ds_bpermute_b32 v10, v3, v18
	v_cmp_gt_u32_e32 vcc_lo, 24, v15
	s_wait_dscnt 0x0
	s_barrier_signal -1
	s_barrier_wait -1
	v_cndmask_b32_e64 v11, 0, 8, vcc_lo
	v_cmp_gt_u32_e32 vcc_lo, 28, v15
	s_delay_alu instid0(VALU_DEP_2) | instskip(SKIP_2) | instid1(VALU_DEP_2)
	v_add_lshl_u32 v11, v11, v15, 2
	v_cndmask_b32_e64 v12, 0, 4, vcc_lo
	v_cmp_gt_u32_e32 vcc_lo, 30, v15
	v_add_lshl_u32 v12, v12, v15, 2
	v_add_f32_e32 v10, v18, v10
	ds_bpermute_b32 v11, v11, v10
	s_wait_dscnt 0x0
	v_add_f32_e32 v10, v10, v11
	ds_bpermute_b32 v11, v12, v10
	v_cndmask_b32_e64 v12, 0, 2, vcc_lo
	v_cmp_ne_u32_e32 vcc_lo, 31, v15
	s_delay_alu instid0(VALU_DEP_2)
	v_add_lshl_u32 v12, v12, v15, 2
	s_wait_dscnt 0x0
	v_add_f32_e32 v10, v10, v11
	ds_bpermute_b32 v11, v12, v10
	v_add_co_ci_u32_e64 v12, null, 0, v15, vcc_lo
	s_wait_dscnt 0x0
	s_delay_alu instid0(VALU_DEP_1) | instskip(SKIP_3) | instid1(VALU_DEP_1)
	v_dual_add_f32 v10, v10, v11 :: v_dual_lshlrev_b32 v11, 2, v12
	ds_bpermute_b32 v11, v11, v10
	s_wait_dscnt 0x0
	v_add_f32_e32 v10, v10, v11
	v_mul_f32_e32 v12, v16, v10
.LBB12_22:                              ;   in Loop: Header=BB12_4 Depth=1
	s_or_b32 exec_lo, exec_lo, s18
	s_delay_alu instid0(SALU_CYCLE_1)
	s_and_b32 exec_lo, exec_lo, s0
	s_cbranch_execz .LBB12_3
; %bb.23:                               ;   in Loop: Header=BB12_4 Depth=1
	s_mul_u64 s[14:15], s[38:39], s[4:5]
	s_delay_alu instid0(SALU_CYCLE_1)
	v_lshl_add_u64 v[10:11], s[14:15], 2, v[4:5]
	s_mov_b32 s14, exec_lo
	v_cmpx_neq_f32_e32 0, v17
	s_cbranch_execz .LBB12_2
; %bb.24:                               ;   in Loop: Header=BB12_4 Depth=1
	global_load_b32 v13, v[10:11], off
	s_wait_loadcnt 0x0
	v_fmac_f32_e32 v12, v17, v13
	s_branch .LBB12_2
.LBB12_25:
	s_endpgm
	.section	.rodata,"a",@progbits
	.p2align	6, 0x0
	.amdhsa_kernel _ZL20rocblas_gbmvn_kernelILi32ELi32E24rocblas_internal_val_ptrIfEPKfPfEvbiiiiT1_T2_lllS6_lllS5_T3_llli
		.amdhsa_group_segment_fixed_size 16384
		.amdhsa_private_segment_fixed_size 0
		.amdhsa_kernarg_size 140
		.amdhsa_user_sgpr_count 4
		.amdhsa_user_sgpr_dispatch_ptr 1
		.amdhsa_user_sgpr_queue_ptr 0
		.amdhsa_user_sgpr_kernarg_segment_ptr 1
		.amdhsa_user_sgpr_dispatch_id 0
		.amdhsa_user_sgpr_kernarg_preload_length 0
		.amdhsa_user_sgpr_kernarg_preload_offset 0
		.amdhsa_user_sgpr_private_segment_size 0
		.amdhsa_wavefront_size32 1
		.amdhsa_uses_dynamic_stack 0
		.amdhsa_enable_private_segment 0
		.amdhsa_system_sgpr_workgroup_id_x 1
		.amdhsa_system_sgpr_workgroup_id_y 0
		.amdhsa_system_sgpr_workgroup_id_z 1
		.amdhsa_system_sgpr_workgroup_info 0
		.amdhsa_system_vgpr_workitem_id 2
		.amdhsa_next_free_vgpr 22
		.amdhsa_next_free_sgpr 40
		.amdhsa_named_barrier_count 0
		.amdhsa_reserve_vcc 1
		.amdhsa_float_round_mode_32 0
		.amdhsa_float_round_mode_16_64 0
		.amdhsa_float_denorm_mode_32 3
		.amdhsa_float_denorm_mode_16_64 3
		.amdhsa_fp16_overflow 0
		.amdhsa_memory_ordered 1
		.amdhsa_forward_progress 1
		.amdhsa_inst_pref_size 10
		.amdhsa_round_robin_scheduling 0
		.amdhsa_exception_fp_ieee_invalid_op 0
		.amdhsa_exception_fp_denorm_src 0
		.amdhsa_exception_fp_ieee_div_zero 0
		.amdhsa_exception_fp_ieee_overflow 0
		.amdhsa_exception_fp_ieee_underflow 0
		.amdhsa_exception_fp_ieee_inexact 0
		.amdhsa_exception_int_div_zero 0
	.end_amdhsa_kernel
	.section	.text._ZL20rocblas_gbmvn_kernelILi32ELi32E24rocblas_internal_val_ptrIfEPKfPfEvbiiiiT1_T2_lllS6_lllS5_T3_llli,"axG",@progbits,_ZL20rocblas_gbmvn_kernelILi32ELi32E24rocblas_internal_val_ptrIfEPKfPfEvbiiiiT1_T2_lllS6_lllS5_T3_llli,comdat
.Lfunc_end12:
	.size	_ZL20rocblas_gbmvn_kernelILi32ELi32E24rocblas_internal_val_ptrIfEPKfPfEvbiiiiT1_T2_lllS6_lllS5_T3_llli, .Lfunc_end12-_ZL20rocblas_gbmvn_kernelILi32ELi32E24rocblas_internal_val_ptrIfEPKfPfEvbiiiiT1_T2_lllS6_lllS5_T3_llli
                                        ; -- End function
	.set _ZL20rocblas_gbmvn_kernelILi32ELi32E24rocblas_internal_val_ptrIfEPKfPfEvbiiiiT1_T2_lllS6_lllS5_T3_llli.num_vgpr, 22
	.set _ZL20rocblas_gbmvn_kernelILi32ELi32E24rocblas_internal_val_ptrIfEPKfPfEvbiiiiT1_T2_lllS6_lllS5_T3_llli.num_agpr, 0
	.set _ZL20rocblas_gbmvn_kernelILi32ELi32E24rocblas_internal_val_ptrIfEPKfPfEvbiiiiT1_T2_lllS6_lllS5_T3_llli.numbered_sgpr, 40
	.set _ZL20rocblas_gbmvn_kernelILi32ELi32E24rocblas_internal_val_ptrIfEPKfPfEvbiiiiT1_T2_lllS6_lllS5_T3_llli.num_named_barrier, 0
	.set _ZL20rocblas_gbmvn_kernelILi32ELi32E24rocblas_internal_val_ptrIfEPKfPfEvbiiiiT1_T2_lllS6_lllS5_T3_llli.private_seg_size, 0
	.set _ZL20rocblas_gbmvn_kernelILi32ELi32E24rocblas_internal_val_ptrIfEPKfPfEvbiiiiT1_T2_lllS6_lllS5_T3_llli.uses_vcc, 1
	.set _ZL20rocblas_gbmvn_kernelILi32ELi32E24rocblas_internal_val_ptrIfEPKfPfEvbiiiiT1_T2_lllS6_lllS5_T3_llli.uses_flat_scratch, 0
	.set _ZL20rocblas_gbmvn_kernelILi32ELi32E24rocblas_internal_val_ptrIfEPKfPfEvbiiiiT1_T2_lllS6_lllS5_T3_llli.has_dyn_sized_stack, 0
	.set _ZL20rocblas_gbmvn_kernelILi32ELi32E24rocblas_internal_val_ptrIfEPKfPfEvbiiiiT1_T2_lllS6_lllS5_T3_llli.has_recursion, 0
	.set _ZL20rocblas_gbmvn_kernelILi32ELi32E24rocblas_internal_val_ptrIfEPKfPfEvbiiiiT1_T2_lllS6_lllS5_T3_llli.has_indirect_call, 0
	.section	.AMDGPU.csdata,"",@progbits
; Kernel info:
; codeLenInByte = 1164
; TotalNumSgprs: 42
; NumVgprs: 22
; ScratchSize: 0
; MemoryBound: 0
; FloatMode: 240
; IeeeMode: 1
; LDSByteSize: 16384 bytes/workgroup (compile time only)
; SGPRBlocks: 0
; VGPRBlocks: 1
; NumSGPRsForWavesPerEU: 42
; NumVGPRsForWavesPerEU: 22
; NamedBarCnt: 0
; Occupancy: 16
; WaveLimiterHint : 0
; COMPUTE_PGM_RSRC2:SCRATCH_EN: 0
; COMPUTE_PGM_RSRC2:USER_SGPR: 4
; COMPUTE_PGM_RSRC2:TRAP_HANDLER: 0
; COMPUTE_PGM_RSRC2:TGID_X_EN: 1
; COMPUTE_PGM_RSRC2:TGID_Y_EN: 0
; COMPUTE_PGM_RSRC2:TGID_Z_EN: 1
; COMPUTE_PGM_RSRC2:TIDIG_COMP_CNT: 2
	.section	.text._ZL20rocblas_gbmvn_kernelILi64ELi16E24rocblas_internal_val_ptrIfEPKfPfEvbiiiiT1_T2_lllS6_lllS5_T3_llli,"axG",@progbits,_ZL20rocblas_gbmvn_kernelILi64ELi16E24rocblas_internal_val_ptrIfEPKfPfEvbiiiiT1_T2_lllS6_lllS5_T3_llli,comdat
	.globl	_ZL20rocblas_gbmvn_kernelILi64ELi16E24rocblas_internal_val_ptrIfEPKfPfEvbiiiiT1_T2_lllS6_lllS5_T3_llli ; -- Begin function _ZL20rocblas_gbmvn_kernelILi64ELi16E24rocblas_internal_val_ptrIfEPKfPfEvbiiiiT1_T2_lllS6_lllS5_T3_llli
	.p2align	8
	.type	_ZL20rocblas_gbmvn_kernelILi64ELi16E24rocblas_internal_val_ptrIfEPKfPfEvbiiiiT1_T2_lllS6_lllS5_T3_llli,@function
_ZL20rocblas_gbmvn_kernelILi64ELi16E24rocblas_internal_val_ptrIfEPKfPfEvbiiiiT1_T2_lllS6_lllS5_T3_llli: ; @_ZL20rocblas_gbmvn_kernelILi64ELi16E24rocblas_internal_val_ptrIfEPKfPfEvbiiiiT1_T2_lllS6_lllS5_T3_llli
; %bb.0:
	s_load_b512 s[4:19], s[2:3], 0x18
	s_load_b64 s[28:29], s[0:1], 0x4
	s_load_b256 s[20:27], s[2:3], 0x58
	v_bfe_u32 v1, v0, 10, 10
	s_load_b32 s33, s[2:3], 0x88
	v_and_b32_e32 v2, 0x3ff, v0
	s_wait_xcnt 0x0
	s_lshr_b32 s1, ttmp7, 16
	v_bfe_u32 v0, v0, 20, 10
	s_wait_kmcnt 0x0
	v_dual_mov_b32 v4, s4 :: v_dual_mov_b32 v5, s5
	v_mul_u32_u24_e32 v3, s29, v1
	s_lshr_b32 s0, s28, 16
	s_bfe_u32 s5, ttmp6, 0x40008
	s_mul_i32 s0, s0, s29
	v_dual_mov_b32 v6, s22 :: v_dual_mov_b32 v7, s23
	v_mad_u32 v3, s0, v2, v3
	s_bfe_u32 s0, ttmp6, 0x40014
	s_delay_alu instid0(SALU_CYCLE_1) | instskip(NEXT) | instid1(SALU_CYCLE_1)
	s_add_co_i32 s0, s0, 1
	s_mul_i32 s4, s1, s0
	s_getreg_b32 s0, hwreg(HW_REG_IB_STS2, 6, 4)
	s_add_co_i32 s5, s5, s4
	s_cmp_eq_u32 s0, 0
	s_cselect_b32 s4, s1, s5
	s_delay_alu instid0(VALU_DEP_1)
	v_add_lshl_u32 v14, v3, v0, 3
	s_cmp_ge_u32 s4, s33
	s_mov_b32 s5, 0
	ds_store_2addr_stride64_b64 v14, v[6:7], v[4:5] offset1:16
	s_cbranch_scc1 .LBB13_25
; %bb.1:
	s_clause 0x2
	s_load_b128 s[28:31], s[2:3], 0x0
	s_load_b32 s1, s[2:3], 0x10
	s_load_b128 s[36:39], s[2:3], 0x78
	v_mbcnt_lo_u32_b32 v15, -1, 0
	s_delay_alu instid0(VALU_DEP_1)
	v_dual_mov_b32 v3, 0 :: v_dual_lshlrev_b32 v16, 2, v15
	s_wait_kmcnt 0x0
	s_bitcmp1_b32 s28, 0
	s_cselect_b32 s22, -1, 0
	s_bfe_u32 s23, ttmp6, 0x4000c
	s_and_b32 s28, ttmp6, 15
	s_add_co_i32 s23, s23, 1
	s_lshl_b64 s[26:27], s[26:27], 2
	s_mul_i32 s23, ttmp9, s23
	s_xor_b32 s22, s22, -1
	s_add_co_i32 s28, s28, s23
	s_cmp_eq_u32 s0, 0
	s_add_nc_u64 s[24:25], s[24:25], s[26:27]
	s_cselect_b32 s0, ttmp9, s28
	s_lshl_b64 s[8:9], s[8:9], 2
	v_lshl_add_u32 v4, s0, 4, v1
	v_cmp_eq_u32_e64 s0, 0, v2
	s_lshl_b64 s[2:3], s[16:17], 2
	s_lshl_b64 s[16:17], s[18:19], 8
	v_subrev_nc_u32_e32 v0, s31, v4
	v_ashrrev_i32_e32 v5, 31, v4
	s_delay_alu instid0(VALU_DEP_2) | instskip(NEXT) | instid1(VALU_DEP_2)
	v_max_i32_e32 v0, 0, v0
	v_mul_u64_e32 v[8:9], s[36:37], v[4:5]
	s_delay_alu instid0(VALU_DEP_2) | instskip(SKIP_2) | instid1(VALU_DEP_2)
	v_dual_add_nc_u32 v0, v0, v2 :: v_dual_min_i32 v5, s31, v4
	v_sub_nc_u32_e32 v2, s1, v2
	v_cmp_gt_i32_e64 s1, s29, v4
	v_dual_ashrrev_i32 v1, 31, v0 :: v_dual_add_nc_u32 v2, v2, v5
	s_delay_alu instid0(VALU_DEP_1)
	v_mul_u64_e32 v[6:7], s[10:11], v[0:1]
	v_mul_u64_e32 v[10:11], s[18:19], v[0:1]
	s_lshl_b64 s[18:19], s[10:11], 8
	s_add_nc_u64 s[10:11], s[14:15], s[2:3]
	v_add_nc_u32_e32 v1, 0x2000, v14
	s_mov_b64 s[14:15], 0xffffffffffffff00
	v_lshl_add_u64 v[4:5], v[8:9], 2, s[24:25]
	s_delay_alu instid0(VALU_DEP_4) | instskip(SKIP_1) | instid1(VALU_DEP_1)
	v_lshl_add_u64 v[6:7], v[6:7], 2, s[8:9]
	s_lshl_b64 s[8:9], s[20:21], 2
	v_lshl_add_u64 v[12:13], v[2:3], 2, v[6:7]
	v_lshl_add_u64 v[6:7], v[10:11], 2, s[10:11]
	v_or_b32_e32 v3, 64, v16
	v_cmp_lt_i32_e64 s2, -1, v2
	s_lshl_b64 s[10:11], s[12:13], 2
	v_add_nc_u64_e32 v[8:9], s[6:7], v[12:13]
	s_mov_b64 s[6:7], 0xffffffffffffffc0
	s_add_nc_u64 s[12:13], s[18:19], s[14:15]
	s_branch .LBB13_4
.LBB13_2:                               ;   in Loop: Header=BB13_4 Depth=1
	s_wait_xcnt 0x0
	s_or_b32 exec_lo, exec_lo, s14
	global_store_b32 v[10:11], v12, off
.LBB13_3:                               ;   in Loop: Header=BB13_4 Depth=1
	s_wait_xcnt 0x0
	s_or_b32 exec_lo, exec_lo, s3
	s_add_co_i32 s4, s4, 0x10000
	s_delay_alu instid0(SALU_CYCLE_1)
	s_cmp_lt_u32 s4, s33
	s_cbranch_scc0 .LBB13_25
.LBB13_4:                               ; =>This Loop Header: Depth=1
                                        ;     Child Loop BB13_15 Depth 2
	s_and_b32 vcc_lo, exec_lo, s22
	s_mov_b32 s3, -1
                                        ; implicit-def: $vgpr17
	s_cbranch_vccnz .LBB13_17
; %bb.5:                                ;   in Loop: Header=BB13_4 Depth=1
	s_and_not1_b32 vcc_lo, exec_lo, s3
	s_cbranch_vccz .LBB13_18
.LBB13_6:                               ;   in Loop: Header=BB13_4 Depth=1
	s_and_b32 vcc_lo, exec_lo, s22
	s_mov_b32 s3, -1
                                        ; implicit-def: $vgpr18
	s_cbranch_vccnz .LBB13_19
.LBB13_7:                               ;   in Loop: Header=BB13_4 Depth=1
	s_and_not1_b32 vcc_lo, exec_lo, s3
	s_cbranch_vccnz .LBB13_9
.LBB13_8:                               ;   in Loop: Header=BB13_4 Depth=1
	s_wait_loadcnt_dscnt 0x0
	ds_load_b32 v18, v14
.LBB13_9:                               ;   in Loop: Header=BB13_4 Depth=1
	s_wait_loadcnt_dscnt 0x0
	v_cmp_neq_f32_e32 vcc_lo, 0, v17
	v_cmp_neq_f32_e64 s3, 1.0, v18
	s_or_b32 s14, vcc_lo, s3
	s_wait_xcnt 0x0
	s_and_saveexec_b32 s3, s14
	s_cbranch_execz .LBB13_3
; %bb.10:                               ;   in Loop: Header=BB13_4 Depth=1
	s_and_b32 exec_lo, exec_lo, s1
	s_cbranch_execz .LBB13_3
; %bb.11:                               ;   in Loop: Header=BB13_4 Depth=1
	v_mov_b32_e32 v12, 0
	s_mov_b32 s18, exec_lo
	v_cmpx_neq_f32_e32 0, v17
	s_cbranch_execz .LBB13_22
; %bb.12:                               ;   in Loop: Header=BB13_4 Depth=1
	v_mov_b32_e32 v19, 0
	s_and_saveexec_b32 s19, s2
	s_cbranch_execz .LBB13_21
; %bb.13:                               ;   in Loop: Header=BB13_4 Depth=1
	v_mad_nc_u64_u32 v[10:11], s8, s4, v[6:7]
	v_mad_nc_u64_u32 v[12:13], s10, s4, v[8:9]
	v_dual_mov_b32 v19, 0 :: v_dual_mov_b32 v20, v0
	s_mov_b64 s[14:15], 0
	s_mov_b32 s20, 0
	s_delay_alu instid0(VALU_DEP_3) | instskip(NEXT) | instid1(VALU_DEP_3)
	v_mad_u32 v11, s9, s4, v11
	v_mad_u32 v13, s11, s4, v13
	s_branch .LBB13_15
.LBB13_14:                              ;   in Loop: Header=BB13_15 Depth=2
	s_wait_xcnt 0x0
	s_or_b32 exec_lo, exec_lo, s21
	s_add_nc_u64 s[14:15], s[14:15], s[6:7]
	s_delay_alu instid0(VALU_DEP_3) | instskip(SKIP_1) | instid1(VALU_DEP_4)
	v_add_nc_u64_e32 v[10:11], s[16:17], v[10:11]
	v_add3_u32 v21, v2, s14, 64
	v_add_nc_u64_e32 v[12:13], s[12:13], v[12:13]
	v_add_nc_u32_e32 v20, 64, v20
	s_delay_alu instid0(VALU_DEP_3) | instskip(SKIP_1) | instid1(SALU_CYCLE_1)
	v_cmp_gt_u32_e32 vcc_lo, 64, v21
	s_or_b32 s20, vcc_lo, s20
	s_and_not1_b32 exec_lo, exec_lo, s20
	s_cbranch_execz .LBB13_20
.LBB13_15:                              ;   Parent Loop BB13_4 Depth=1
                                        ; =>  This Inner Loop Header: Depth=2
	s_mov_b32 s21, exec_lo
	v_cmpx_gt_i32_e64 s30, v20
	s_cbranch_execz .LBB13_14
; %bb.16:                               ;   in Loop: Header=BB13_15 Depth=2
	global_load_b32 v21, v[12:13], off
	global_load_b32 v22, v[10:11], off
	s_wait_loadcnt 0x0
	v_fmac_f32_e32 v19, v21, v22
	s_branch .LBB13_14
.LBB13_17:                              ;   in Loop: Header=BB13_4 Depth=1
	ds_load_b64 v[10:11], v1
	s_wait_dscnt 0x0
	flat_load_b32 v17, v[10:11]
	s_cbranch_execnz .LBB13_6
.LBB13_18:                              ;   in Loop: Header=BB13_4 Depth=1
	s_wait_loadcnt_dscnt 0x0
	ds_load_b32 v17, v1
	s_and_b32 vcc_lo, exec_lo, s22
	s_mov_b32 s3, -1
                                        ; implicit-def: $vgpr18
	s_cbranch_vccz .LBB13_7
.LBB13_19:                              ;   in Loop: Header=BB13_4 Depth=1
	s_wait_xcnt 0x0
	ds_load_b64 v[10:11], v14
	s_wait_dscnt 0x0
	flat_load_b32 v18, v[10:11]
	s_cbranch_execz .LBB13_8
	s_branch .LBB13_9
.LBB13_20:                              ;   in Loop: Header=BB13_4 Depth=1
	s_or_b32 exec_lo, exec_lo, s20
.LBB13_21:                              ;   in Loop: Header=BB13_4 Depth=1
	s_delay_alu instid0(SALU_CYCLE_1)
	s_or_b32 exec_lo, exec_lo, s19
	ds_bpermute_b32 v10, v16, v19
	v_cmp_gt_u32_e32 vcc_lo, 24, v15
	s_wait_dscnt 0x0
	s_barrier_signal -1
	s_barrier_wait -1
	v_cndmask_b32_e64 v12, 0, 8, vcc_lo
	v_cmp_gt_u32_e32 vcc_lo, 28, v15
	s_delay_alu instid0(VALU_DEP_2)
	v_add_lshl_u32 v12, v12, v15, 2
	v_add_f32_e32 v10, v19, v10
	ds_bpermute_b32 v11, v3, v10
	s_wait_dscnt 0x0
	v_add_f32_e32 v10, v10, v11
	ds_bpermute_b32 v11, v12, v10
	v_cndmask_b32_e64 v12, 0, 4, vcc_lo
	v_cmp_gt_u32_e32 vcc_lo, 30, v15
	s_delay_alu instid0(VALU_DEP_2)
	v_add_lshl_u32 v12, v12, v15, 2
	s_wait_dscnt 0x0
	v_add_f32_e32 v10, v10, v11
	ds_bpermute_b32 v11, v12, v10
	v_cndmask_b32_e64 v12, 0, 2, vcc_lo
	v_cmp_ne_u32_e32 vcc_lo, 31, v15
	s_delay_alu instid0(VALU_DEP_2)
	v_add_lshl_u32 v12, v12, v15, 2
	s_wait_dscnt 0x0
	v_add_f32_e32 v10, v10, v11
	ds_bpermute_b32 v11, v12, v10
	v_add_co_ci_u32_e64 v12, null, 0, v15, vcc_lo
	s_wait_dscnt 0x0
	s_delay_alu instid0(VALU_DEP_1) | instskip(SKIP_3) | instid1(VALU_DEP_1)
	v_dual_add_f32 v10, v10, v11 :: v_dual_lshlrev_b32 v11, 2, v12
	ds_bpermute_b32 v11, v11, v10
	s_wait_dscnt 0x0
	v_add_f32_e32 v10, v10, v11
	v_mul_f32_e32 v12, v17, v10
.LBB13_22:                              ;   in Loop: Header=BB13_4 Depth=1
	s_or_b32 exec_lo, exec_lo, s18
	s_delay_alu instid0(SALU_CYCLE_1)
	s_and_b32 exec_lo, exec_lo, s0
	s_cbranch_execz .LBB13_3
; %bb.23:                               ;   in Loop: Header=BB13_4 Depth=1
	s_mul_u64 s[14:15], s[38:39], s[4:5]
	s_delay_alu instid0(SALU_CYCLE_1)
	v_lshl_add_u64 v[10:11], s[14:15], 2, v[4:5]
	s_mov_b32 s14, exec_lo
	v_cmpx_neq_f32_e32 0, v18
	s_cbranch_execz .LBB13_2
; %bb.24:                               ;   in Loop: Header=BB13_4 Depth=1
	global_load_b32 v13, v[10:11], off
	s_wait_loadcnt 0x0
	v_fmac_f32_e32 v12, v18, v13
	s_branch .LBB13_2
.LBB13_25:
	s_endpgm
	.section	.rodata,"a",@progbits
	.p2align	6, 0x0
	.amdhsa_kernel _ZL20rocblas_gbmvn_kernelILi64ELi16E24rocblas_internal_val_ptrIfEPKfPfEvbiiiiT1_T2_lllS6_lllS5_T3_llli
		.amdhsa_group_segment_fixed_size 16384
		.amdhsa_private_segment_fixed_size 0
		.amdhsa_kernarg_size 140
		.amdhsa_user_sgpr_count 4
		.amdhsa_user_sgpr_dispatch_ptr 1
		.amdhsa_user_sgpr_queue_ptr 0
		.amdhsa_user_sgpr_kernarg_segment_ptr 1
		.amdhsa_user_sgpr_dispatch_id 0
		.amdhsa_user_sgpr_kernarg_preload_length 0
		.amdhsa_user_sgpr_kernarg_preload_offset 0
		.amdhsa_user_sgpr_private_segment_size 0
		.amdhsa_wavefront_size32 1
		.amdhsa_uses_dynamic_stack 0
		.amdhsa_enable_private_segment 0
		.amdhsa_system_sgpr_workgroup_id_x 1
		.amdhsa_system_sgpr_workgroup_id_y 0
		.amdhsa_system_sgpr_workgroup_id_z 1
		.amdhsa_system_sgpr_workgroup_info 0
		.amdhsa_system_vgpr_workitem_id 2
		.amdhsa_next_free_vgpr 23
		.amdhsa_next_free_sgpr 40
		.amdhsa_named_barrier_count 0
		.amdhsa_reserve_vcc 1
		.amdhsa_float_round_mode_32 0
		.amdhsa_float_round_mode_16_64 0
		.amdhsa_float_denorm_mode_32 3
		.amdhsa_float_denorm_mode_16_64 3
		.amdhsa_fp16_overflow 0
		.amdhsa_memory_ordered 1
		.amdhsa_forward_progress 1
		.amdhsa_inst_pref_size 10
		.amdhsa_round_robin_scheduling 0
		.amdhsa_exception_fp_ieee_invalid_op 0
		.amdhsa_exception_fp_denorm_src 0
		.amdhsa_exception_fp_ieee_div_zero 0
		.amdhsa_exception_fp_ieee_overflow 0
		.amdhsa_exception_fp_ieee_underflow 0
		.amdhsa_exception_fp_ieee_inexact 0
		.amdhsa_exception_int_div_zero 0
	.end_amdhsa_kernel
	.section	.text._ZL20rocblas_gbmvn_kernelILi64ELi16E24rocblas_internal_val_ptrIfEPKfPfEvbiiiiT1_T2_lllS6_lllS5_T3_llli,"axG",@progbits,_ZL20rocblas_gbmvn_kernelILi64ELi16E24rocblas_internal_val_ptrIfEPKfPfEvbiiiiT1_T2_lllS6_lllS5_T3_llli,comdat
.Lfunc_end13:
	.size	_ZL20rocblas_gbmvn_kernelILi64ELi16E24rocblas_internal_val_ptrIfEPKfPfEvbiiiiT1_T2_lllS6_lllS5_T3_llli, .Lfunc_end13-_ZL20rocblas_gbmvn_kernelILi64ELi16E24rocblas_internal_val_ptrIfEPKfPfEvbiiiiT1_T2_lllS6_lllS5_T3_llli
                                        ; -- End function
	.set _ZL20rocblas_gbmvn_kernelILi64ELi16E24rocblas_internal_val_ptrIfEPKfPfEvbiiiiT1_T2_lllS6_lllS5_T3_llli.num_vgpr, 23
	.set _ZL20rocblas_gbmvn_kernelILi64ELi16E24rocblas_internal_val_ptrIfEPKfPfEvbiiiiT1_T2_lllS6_lllS5_T3_llli.num_agpr, 0
	.set _ZL20rocblas_gbmvn_kernelILi64ELi16E24rocblas_internal_val_ptrIfEPKfPfEvbiiiiT1_T2_lllS6_lllS5_T3_llli.numbered_sgpr, 40
	.set _ZL20rocblas_gbmvn_kernelILi64ELi16E24rocblas_internal_val_ptrIfEPKfPfEvbiiiiT1_T2_lllS6_lllS5_T3_llli.num_named_barrier, 0
	.set _ZL20rocblas_gbmvn_kernelILi64ELi16E24rocblas_internal_val_ptrIfEPKfPfEvbiiiiT1_T2_lllS6_lllS5_T3_llli.private_seg_size, 0
	.set _ZL20rocblas_gbmvn_kernelILi64ELi16E24rocblas_internal_val_ptrIfEPKfPfEvbiiiiT1_T2_lllS6_lllS5_T3_llli.uses_vcc, 1
	.set _ZL20rocblas_gbmvn_kernelILi64ELi16E24rocblas_internal_val_ptrIfEPKfPfEvbiiiiT1_T2_lllS6_lllS5_T3_llli.uses_flat_scratch, 0
	.set _ZL20rocblas_gbmvn_kernelILi64ELi16E24rocblas_internal_val_ptrIfEPKfPfEvbiiiiT1_T2_lllS6_lllS5_T3_llli.has_dyn_sized_stack, 0
	.set _ZL20rocblas_gbmvn_kernelILi64ELi16E24rocblas_internal_val_ptrIfEPKfPfEvbiiiiT1_T2_lllS6_lllS5_T3_llli.has_recursion, 0
	.set _ZL20rocblas_gbmvn_kernelILi64ELi16E24rocblas_internal_val_ptrIfEPKfPfEvbiiiiT1_T2_lllS6_lllS5_T3_llli.has_indirect_call, 0
	.section	.AMDGPU.csdata,"",@progbits
; Kernel info:
; codeLenInByte = 1188
; TotalNumSgprs: 42
; NumVgprs: 23
; ScratchSize: 0
; MemoryBound: 0
; FloatMode: 240
; IeeeMode: 1
; LDSByteSize: 16384 bytes/workgroup (compile time only)
; SGPRBlocks: 0
; VGPRBlocks: 1
; NumSGPRsForWavesPerEU: 42
; NumVGPRsForWavesPerEU: 23
; NamedBarCnt: 0
; Occupancy: 16
; WaveLimiterHint : 0
; COMPUTE_PGM_RSRC2:SCRATCH_EN: 0
; COMPUTE_PGM_RSRC2:USER_SGPR: 4
; COMPUTE_PGM_RSRC2:TRAP_HANDLER: 0
; COMPUTE_PGM_RSRC2:TGID_X_EN: 1
; COMPUTE_PGM_RSRC2:TGID_Y_EN: 0
; COMPUTE_PGM_RSRC2:TGID_Z_EN: 1
; COMPUTE_PGM_RSRC2:TIDIG_COMP_CNT: 2
	.section	.text._ZL20rocblas_gbmvt_kernelILi32ELi32E24rocblas_internal_val_ptrIfEPKfPfEvb18rocblas_operation_iiiiT1_T2_lllS7_lllS6_T3_llli,"axG",@progbits,_ZL20rocblas_gbmvt_kernelILi32ELi32E24rocblas_internal_val_ptrIfEPKfPfEvb18rocblas_operation_iiiiT1_T2_lllS7_lllS6_T3_llli,comdat
	.globl	_ZL20rocblas_gbmvt_kernelILi32ELi32E24rocblas_internal_val_ptrIfEPKfPfEvb18rocblas_operation_iiiiT1_T2_lllS7_lllS6_T3_llli ; -- Begin function _ZL20rocblas_gbmvt_kernelILi32ELi32E24rocblas_internal_val_ptrIfEPKfPfEvb18rocblas_operation_iiiiT1_T2_lllS7_lllS6_T3_llli
	.p2align	8
	.type	_ZL20rocblas_gbmvt_kernelILi32ELi32E24rocblas_internal_val_ptrIfEPKfPfEvb18rocblas_operation_iiiiT1_T2_lllS7_lllS6_T3_llli,@function
_ZL20rocblas_gbmvt_kernelILi32ELi32E24rocblas_internal_val_ptrIfEPKfPfEvb18rocblas_operation_iiiiT1_T2_lllS7_lllS6_T3_llli: ; @_ZL20rocblas_gbmvt_kernelILi32ELi32E24rocblas_internal_val_ptrIfEPKfPfEvb18rocblas_operation_iiiiT1_T2_lllS7_lllS6_T3_llli
; %bb.0:
	s_load_b512 s[4:19], s[2:3], 0x18
	s_load_b64 s[28:29], s[0:1], 0x4
	s_load_b256 s[20:27], s[2:3], 0x58
	v_bfe_u32 v1, v0, 10, 10
	s_load_b32 s33, s[2:3], 0x88
	v_and_b32_e32 v14, 0x3ff, v0
	s_wait_xcnt 0x0
	s_lshr_b32 s1, ttmp7, 16
	v_bfe_u32 v0, v0, 20, 10
	s_wait_kmcnt 0x0
	v_dual_mov_b32 v2, s4 :: v_dual_mov_b32 v3, s5
	v_mul_u32_u24_e32 v5, s29, v1
	s_lshr_b32 s0, s28, 16
	s_bfe_u32 s5, ttmp6, 0x40008
	s_mul_i32 s0, s0, s29
	v_mov_b32_e32 v4, s22
	v_mad_u32 v6, s0, v14, v5
	s_bfe_u32 s0, ttmp6, 0x40014
	v_mov_b32_e32 v5, s23
	s_add_co_i32 s0, s0, 1
	s_delay_alu instid0(SALU_CYCLE_1) | instskip(SKIP_4) | instid1(VALU_DEP_2)
	s_mul_i32 s4, s1, s0
	s_getreg_b32 s0, hwreg(HW_REG_IB_STS2, 6, 4)
	s_add_co_i32 s5, s5, s4
	s_cmp_eq_u32 s0, 0
	s_cselect_b32 s4, s1, s5
	v_add_lshl_u32 v15, v6, v0, 3
	s_cmp_ge_u32 s4, s33
	s_mov_b32 s5, 0
	ds_store_2addr_stride64_b64 v15, v[4:5], v[2:3] offset1:16
	s_cbranch_scc1 .LBB14_27
; %bb.1:
	s_clause 0x2
	s_load_b32 s1, s[2:3], 0x0
	s_load_b128 s[28:31], s[2:3], 0x8
	s_load_b128 s[36:39], s[2:3], 0x78
	s_wait_xcnt 0x0
	v_cmp_eq_u32_e64 s2, 0, v14
	s_wait_kmcnt 0x0
	s_bitcmp1_b32 s1, 0
	v_sub_nc_u32_e32 v2, s31, v14
	s_cselect_b32 s1, -1, 0
	s_bfe_u32 s22, ttmp6, 0x4000c
	s_and_b32 s23, ttmp6, 15
	s_add_co_i32 s22, s22, 1
	s_lshl_b64 s[26:27], s[26:27], 2
	s_mul_i32 s34, ttmp9, s22
	s_xor_b32 s22, s1, -1
	s_add_co_i32 s23, s23, s34
	s_cmp_eq_u32 s0, 0
	v_ashrrev_i32_e32 v3, 31, v2
	s_cselect_b32 s0, ttmp9, s23
	s_add_co_i32 s23, s31, s30
	v_lshl_add_u32 v0, s0, 5, v1
	s_lshl_b64 s[0:1], s[8:9], 2
	s_add_nc_u64 s[8:9], s[24:25], s[26:27]
	s_delay_alu instid0(VALU_DEP_1) | instskip(NEXT) | instid1(VALU_DEP_1)
	v_ashrrev_i32_e32 v1, 31, v0
	v_mul_u64_e32 v[4:5], s[10:11], v[0:1]
	v_mul_u64_e32 v[8:9], s[36:37], v[0:1]
	s_lshl_b64 s[10:11], s[16:17], 2
	v_sub_nc_u64_e32 v[6:7], v[0:1], v[2:3]
	v_mbcnt_lo_u32_b32 v3, -1, 0
	v_add_nc_u32_e32 v1, 0x2000, v15
	s_delay_alu instid0(VALU_DEP_2) | instskip(NEXT) | instid1(VALU_DEP_4)
	v_lshl_or_b32 v16, v3, 2, 64
	v_mul_u64_e32 v[10:11], s[18:19], v[6:7]
	v_dual_mov_b32 v7, 0 :: v_dual_lshlrev_b32 v6, 2, v14
	v_lshl_add_u64 v[4:5], v[4:5], 2, s[0:1]
	v_cmp_gt_i32_e64 s0, s29, v0
	v_cmp_ge_i32_e64 s1, s23, v14
	s_delay_alu instid0(VALU_DEP_3)
	v_add_nc_u64_e32 v[6:7], v[4:5], v[6:7]
	v_lshl_add_u64 v[4:5], v[8:9], 2, s[8:9]
	s_add_nc_u64 s[8:9], s[14:15], s[10:11]
	s_lshl_b64 s[10:11], s[18:19], 7
	v_lshl_add_u64 v[8:9], v[10:11], 2, s[8:9]
	s_lshl_b64 s[8:9], s[20:21], 2
	s_delay_alu instid0(VALU_DEP_3)
	v_add_nc_u64_e32 v[6:7], s[6:7], v[6:7]
	s_lshl_b64 s[6:7], s[12:13], 2
	s_branch .LBB14_4
.LBB14_2:                               ;   in Loop: Header=BB14_4 Depth=1
	s_wait_xcnt 0x0
	s_or_b32 exec_lo, exec_lo, s3
	global_store_b32 v[10:11], v12, off
.LBB14_3:                               ;   in Loop: Header=BB14_4 Depth=1
	s_wait_xcnt 0x0
	s_or_b32 exec_lo, exec_lo, s12
	s_add_co_i32 s4, s4, 0x10000
	s_delay_alu instid0(SALU_CYCLE_1)
	s_cmp_lt_u32 s4, s33
	s_cbranch_scc0 .LBB14_27
.LBB14_4:                               ; =>This Loop Header: Depth=1
                                        ;     Child Loop BB14_16 Depth 2
	s_and_b32 vcc_lo, exec_lo, s22
	s_mov_b32 s3, -1
                                        ; implicit-def: $vgpr17
	s_cbranch_vccnz .LBB14_19
; %bb.5:                                ;   in Loop: Header=BB14_4 Depth=1
	s_and_not1_b32 vcc_lo, exec_lo, s3
	s_cbranch_vccz .LBB14_20
.LBB14_6:                               ;   in Loop: Header=BB14_4 Depth=1
	s_and_b32 vcc_lo, exec_lo, s22
	s_mov_b32 s3, -1
                                        ; implicit-def: $vgpr18
	s_cbranch_vccnz .LBB14_21
.LBB14_7:                               ;   in Loop: Header=BB14_4 Depth=1
	s_and_not1_b32 vcc_lo, exec_lo, s3
	s_cbranch_vccnz .LBB14_9
.LBB14_8:                               ;   in Loop: Header=BB14_4 Depth=1
	s_wait_loadcnt_dscnt 0x0
	ds_load_b32 v18, v15
.LBB14_9:                               ;   in Loop: Header=BB14_4 Depth=1
	s_wait_loadcnt_dscnt 0x0
	v_cmp_neq_f32_e32 vcc_lo, 0, v17
	v_cmp_neq_f32_e64 s3, 1.0, v18
	s_or_b32 s3, vcc_lo, s3
	s_wait_xcnt 0x0
	s_and_saveexec_b32 s12, s3
	s_cbranch_execz .LBB14_3
; %bb.10:                               ;   in Loop: Header=BB14_4 Depth=1
	s_and_b32 exec_lo, exec_lo, s0
	s_cbranch_execz .LBB14_3
; %bb.11:                               ;   in Loop: Header=BB14_4 Depth=1
	v_mov_b32_e32 v12, 0
	s_mov_b32 s13, exec_lo
	v_cmpx_neq_f32_e32 0, v17
	s_cbranch_execz .LBB14_24
; %bb.12:                               ;   in Loop: Header=BB14_4 Depth=1
	v_mov_b32_e32 v19, 0
	s_and_saveexec_b32 s14, s1
	s_cbranch_execz .LBB14_23
; %bb.13:                               ;   in Loop: Header=BB14_4 Depth=1
	v_mad_nc_u64_u32 v[10:11], s6, s4, v[6:7]
	v_mad_nc_u64_u32 v[12:13], s8, s4, v[8:9]
	v_dual_mov_b32 v19, 0 :: v_dual_mov_b32 v20, v2
	v_mov_b32_e32 v21, v14
	s_mov_b32 s15, 0
	s_delay_alu instid0(VALU_DEP_4) | instskip(NEXT) | instid1(VALU_DEP_4)
	v_mad_u32 v11, s7, s4, v11
	v_mad_u32 v13, s9, s4, v13
	s_branch .LBB14_16
.LBB14_14:                              ;   in Loop: Header=BB14_16 Depth=2
	s_wait_xcnt 0x0
	s_or_b32 exec_lo, exec_lo, s3
.LBB14_15:                              ;   in Loop: Header=BB14_16 Depth=2
	s_delay_alu instid0(SALU_CYCLE_1) | instskip(SKIP_4) | instid1(VALU_DEP_4)
	s_or_b32 exec_lo, exec_lo, s16
	v_add_nc_u32_e32 v21, 32, v21
	v_add_nc_u64_e32 v[10:11], 0x80, v[10:11]
	v_add_nc_u64_e32 v[12:13], s[10:11], v[12:13]
	v_subrev_nc_u32_e32 v20, 32, v20
	v_cmp_lt_i32_e32 vcc_lo, s23, v21
	s_or_b32 s15, vcc_lo, s15
	s_delay_alu instid0(SALU_CYCLE_1)
	s_and_not1_b32 exec_lo, exec_lo, s15
	s_cbranch_execz .LBB14_22
.LBB14_16:                              ;   Parent Loop BB14_4 Depth=1
                                        ; =>  This Inner Loop Header: Depth=2
	v_add_nc_u32_e32 v22, s28, v20
	s_mov_b32 s16, exec_lo
	s_delay_alu instid0(VALU_DEP_1)
	v_cmpx_lt_i32_e64 v0, v22
	s_cbranch_execz .LBB14_15
; %bb.17:                               ;   in Loop: Header=BB14_16 Depth=2
	v_cmp_lt_i32_e32 vcc_lo, s31, v21
	v_cmp_ge_i32_e64 s3, v0, v20
	s_or_b32 s17, vcc_lo, s3
	s_delay_alu instid0(SALU_CYCLE_1)
	s_and_saveexec_b32 s3, s17
	s_cbranch_execz .LBB14_14
; %bb.18:                               ;   in Loop: Header=BB14_16 Depth=2
	global_load_b32 v22, v[10:11], off
	global_load_b32 v23, v[12:13], off
	s_wait_loadcnt 0x0
	v_fmac_f32_e32 v19, v22, v23
	s_branch .LBB14_14
.LBB14_19:                              ;   in Loop: Header=BB14_4 Depth=1
	ds_load_b64 v[10:11], v1
	s_wait_dscnt 0x0
	flat_load_b32 v17, v[10:11]
	s_cbranch_execnz .LBB14_6
.LBB14_20:                              ;   in Loop: Header=BB14_4 Depth=1
	s_wait_loadcnt_dscnt 0x0
	ds_load_b32 v17, v1
	s_and_b32 vcc_lo, exec_lo, s22
	s_mov_b32 s3, -1
                                        ; implicit-def: $vgpr18
	s_cbranch_vccz .LBB14_7
.LBB14_21:                              ;   in Loop: Header=BB14_4 Depth=1
	s_wait_xcnt 0x0
	ds_load_b64 v[10:11], v15
	s_wait_dscnt 0x0
	flat_load_b32 v18, v[10:11]
	s_cbranch_execz .LBB14_8
	s_branch .LBB14_9
.LBB14_22:                              ;   in Loop: Header=BB14_4 Depth=1
	s_or_b32 exec_lo, exec_lo, s15
.LBB14_23:                              ;   in Loop: Header=BB14_4 Depth=1
	s_delay_alu instid0(SALU_CYCLE_1)
	s_or_b32 exec_lo, exec_lo, s14
	ds_bpermute_b32 v10, v16, v19
	v_cmp_gt_u32_e32 vcc_lo, 24, v3
	s_wait_dscnt 0x0
	s_barrier_signal -1
	s_barrier_wait -1
	v_cndmask_b32_e64 v11, 0, 8, vcc_lo
	v_cmp_gt_u32_e32 vcc_lo, 28, v3
	s_delay_alu instid0(VALU_DEP_2) | instskip(SKIP_2) | instid1(VALU_DEP_2)
	v_add_lshl_u32 v11, v11, v3, 2
	v_cndmask_b32_e64 v12, 0, 4, vcc_lo
	v_cmp_gt_u32_e32 vcc_lo, 30, v3
	v_add_lshl_u32 v12, v12, v3, 2
	v_add_f32_e32 v10, v19, v10
	ds_bpermute_b32 v11, v11, v10
	s_wait_dscnt 0x0
	v_add_f32_e32 v10, v10, v11
	ds_bpermute_b32 v11, v12, v10
	v_cndmask_b32_e64 v12, 0, 2, vcc_lo
	v_cmp_ne_u32_e32 vcc_lo, 31, v3
	s_delay_alu instid0(VALU_DEP_2)
	v_add_lshl_u32 v12, v12, v3, 2
	s_wait_dscnt 0x0
	v_add_f32_e32 v10, v10, v11
	ds_bpermute_b32 v11, v12, v10
	v_add_co_ci_u32_e64 v12, null, 0, v3, vcc_lo
	s_wait_dscnt 0x0
	s_delay_alu instid0(VALU_DEP_1) | instskip(SKIP_3) | instid1(VALU_DEP_1)
	v_dual_add_f32 v10, v10, v11 :: v_dual_lshlrev_b32 v11, 2, v12
	ds_bpermute_b32 v11, v11, v10
	s_wait_dscnt 0x0
	v_add_f32_e32 v10, v10, v11
	v_mul_f32_e32 v12, v17, v10
.LBB14_24:                              ;   in Loop: Header=BB14_4 Depth=1
	s_or_b32 exec_lo, exec_lo, s13
	s_delay_alu instid0(SALU_CYCLE_1)
	s_and_b32 exec_lo, exec_lo, s2
	s_cbranch_execz .LBB14_3
; %bb.25:                               ;   in Loop: Header=BB14_4 Depth=1
	s_mul_u64 s[14:15], s[38:39], s[4:5]
	s_mov_b32 s3, exec_lo
	v_lshl_add_u64 v[10:11], s[14:15], 2, v[4:5]
	v_cmpx_neq_f32_e32 0, v18
	s_cbranch_execz .LBB14_2
; %bb.26:                               ;   in Loop: Header=BB14_4 Depth=1
	global_load_b32 v13, v[10:11], off
	s_wait_loadcnt 0x0
	v_fmac_f32_e32 v12, v18, v13
	s_branch .LBB14_2
.LBB14_27:
	s_endpgm
	.section	.rodata,"a",@progbits
	.p2align	6, 0x0
	.amdhsa_kernel _ZL20rocblas_gbmvt_kernelILi32ELi32E24rocblas_internal_val_ptrIfEPKfPfEvb18rocblas_operation_iiiiT1_T2_lllS7_lllS6_T3_llli
		.amdhsa_group_segment_fixed_size 16384
		.amdhsa_private_segment_fixed_size 0
		.amdhsa_kernarg_size 140
		.amdhsa_user_sgpr_count 4
		.amdhsa_user_sgpr_dispatch_ptr 1
		.amdhsa_user_sgpr_queue_ptr 0
		.amdhsa_user_sgpr_kernarg_segment_ptr 1
		.amdhsa_user_sgpr_dispatch_id 0
		.amdhsa_user_sgpr_kernarg_preload_length 0
		.amdhsa_user_sgpr_kernarg_preload_offset 0
		.amdhsa_user_sgpr_private_segment_size 0
		.amdhsa_wavefront_size32 1
		.amdhsa_uses_dynamic_stack 0
		.amdhsa_enable_private_segment 0
		.amdhsa_system_sgpr_workgroup_id_x 1
		.amdhsa_system_sgpr_workgroup_id_y 0
		.amdhsa_system_sgpr_workgroup_id_z 1
		.amdhsa_system_sgpr_workgroup_info 0
		.amdhsa_system_vgpr_workitem_id 2
		.amdhsa_next_free_vgpr 24
		.amdhsa_next_free_sgpr 40
		.amdhsa_named_barrier_count 0
		.amdhsa_reserve_vcc 1
		.amdhsa_float_round_mode_32 0
		.amdhsa_float_round_mode_16_64 0
		.amdhsa_float_denorm_mode_32 3
		.amdhsa_float_denorm_mode_16_64 3
		.amdhsa_fp16_overflow 0
		.amdhsa_memory_ordered 1
		.amdhsa_forward_progress 1
		.amdhsa_inst_pref_size 9
		.amdhsa_round_robin_scheduling 0
		.amdhsa_exception_fp_ieee_invalid_op 0
		.amdhsa_exception_fp_denorm_src 0
		.amdhsa_exception_fp_ieee_div_zero 0
		.amdhsa_exception_fp_ieee_overflow 0
		.amdhsa_exception_fp_ieee_underflow 0
		.amdhsa_exception_fp_ieee_inexact 0
		.amdhsa_exception_int_div_zero 0
	.end_amdhsa_kernel
	.section	.text._ZL20rocblas_gbmvt_kernelILi32ELi32E24rocblas_internal_val_ptrIfEPKfPfEvb18rocblas_operation_iiiiT1_T2_lllS7_lllS6_T3_llli,"axG",@progbits,_ZL20rocblas_gbmvt_kernelILi32ELi32E24rocblas_internal_val_ptrIfEPKfPfEvb18rocblas_operation_iiiiT1_T2_lllS7_lllS6_T3_llli,comdat
.Lfunc_end14:
	.size	_ZL20rocblas_gbmvt_kernelILi32ELi32E24rocblas_internal_val_ptrIfEPKfPfEvb18rocblas_operation_iiiiT1_T2_lllS7_lllS6_T3_llli, .Lfunc_end14-_ZL20rocblas_gbmvt_kernelILi32ELi32E24rocblas_internal_val_ptrIfEPKfPfEvb18rocblas_operation_iiiiT1_T2_lllS7_lllS6_T3_llli
                                        ; -- End function
	.set _ZL20rocblas_gbmvt_kernelILi32ELi32E24rocblas_internal_val_ptrIfEPKfPfEvb18rocblas_operation_iiiiT1_T2_lllS7_lllS6_T3_llli.num_vgpr, 24
	.set _ZL20rocblas_gbmvt_kernelILi32ELi32E24rocblas_internal_val_ptrIfEPKfPfEvb18rocblas_operation_iiiiT1_T2_lllS7_lllS6_T3_llli.num_agpr, 0
	.set _ZL20rocblas_gbmvt_kernelILi32ELi32E24rocblas_internal_val_ptrIfEPKfPfEvb18rocblas_operation_iiiiT1_T2_lllS7_lllS6_T3_llli.numbered_sgpr, 40
	.set _ZL20rocblas_gbmvt_kernelILi32ELi32E24rocblas_internal_val_ptrIfEPKfPfEvb18rocblas_operation_iiiiT1_T2_lllS7_lllS6_T3_llli.num_named_barrier, 0
	.set _ZL20rocblas_gbmvt_kernelILi32ELi32E24rocblas_internal_val_ptrIfEPKfPfEvb18rocblas_operation_iiiiT1_T2_lllS7_lllS6_T3_llli.private_seg_size, 0
	.set _ZL20rocblas_gbmvt_kernelILi32ELi32E24rocblas_internal_val_ptrIfEPKfPfEvb18rocblas_operation_iiiiT1_T2_lllS7_lllS6_T3_llli.uses_vcc, 1
	.set _ZL20rocblas_gbmvt_kernelILi32ELi32E24rocblas_internal_val_ptrIfEPKfPfEvb18rocblas_operation_iiiiT1_T2_lllS7_lllS6_T3_llli.uses_flat_scratch, 0
	.set _ZL20rocblas_gbmvt_kernelILi32ELi32E24rocblas_internal_val_ptrIfEPKfPfEvb18rocblas_operation_iiiiT1_T2_lllS7_lllS6_T3_llli.has_dyn_sized_stack, 0
	.set _ZL20rocblas_gbmvt_kernelILi32ELi32E24rocblas_internal_val_ptrIfEPKfPfEvb18rocblas_operation_iiiiT1_T2_lllS7_lllS6_T3_llli.has_recursion, 0
	.set _ZL20rocblas_gbmvt_kernelILi32ELi32E24rocblas_internal_val_ptrIfEPKfPfEvb18rocblas_operation_iiiiT1_T2_lllS7_lllS6_T3_llli.has_indirect_call, 0
	.section	.AMDGPU.csdata,"",@progbits
; Kernel info:
; codeLenInByte = 1152
; TotalNumSgprs: 42
; NumVgprs: 24
; ScratchSize: 0
; MemoryBound: 0
; FloatMode: 240
; IeeeMode: 1
; LDSByteSize: 16384 bytes/workgroup (compile time only)
; SGPRBlocks: 0
; VGPRBlocks: 1
; NumSGPRsForWavesPerEU: 42
; NumVGPRsForWavesPerEU: 24
; NamedBarCnt: 0
; Occupancy: 16
; WaveLimiterHint : 0
; COMPUTE_PGM_RSRC2:SCRATCH_EN: 0
; COMPUTE_PGM_RSRC2:USER_SGPR: 4
; COMPUTE_PGM_RSRC2:TRAP_HANDLER: 0
; COMPUTE_PGM_RSRC2:TGID_X_EN: 1
; COMPUTE_PGM_RSRC2:TGID_Y_EN: 0
; COMPUTE_PGM_RSRC2:TGID_Z_EN: 1
; COMPUTE_PGM_RSRC2:TIDIG_COMP_CNT: 2
	.section	.text._ZL20rocblas_gbmvt_kernelILi64ELi16E24rocblas_internal_val_ptrIfEPKfPfEvb18rocblas_operation_iiiiT1_T2_lllS7_lllS6_T3_llli,"axG",@progbits,_ZL20rocblas_gbmvt_kernelILi64ELi16E24rocblas_internal_val_ptrIfEPKfPfEvb18rocblas_operation_iiiiT1_T2_lllS7_lllS6_T3_llli,comdat
	.globl	_ZL20rocblas_gbmvt_kernelILi64ELi16E24rocblas_internal_val_ptrIfEPKfPfEvb18rocblas_operation_iiiiT1_T2_lllS7_lllS6_T3_llli ; -- Begin function _ZL20rocblas_gbmvt_kernelILi64ELi16E24rocblas_internal_val_ptrIfEPKfPfEvb18rocblas_operation_iiiiT1_T2_lllS7_lllS6_T3_llli
	.p2align	8
	.type	_ZL20rocblas_gbmvt_kernelILi64ELi16E24rocblas_internal_val_ptrIfEPKfPfEvb18rocblas_operation_iiiiT1_T2_lllS7_lllS6_T3_llli,@function
_ZL20rocblas_gbmvt_kernelILi64ELi16E24rocblas_internal_val_ptrIfEPKfPfEvb18rocblas_operation_iiiiT1_T2_lllS7_lllS6_T3_llli: ; @_ZL20rocblas_gbmvt_kernelILi64ELi16E24rocblas_internal_val_ptrIfEPKfPfEvb18rocblas_operation_iiiiT1_T2_lllS7_lllS6_T3_llli
; %bb.0:
	s_load_b512 s[4:19], s[2:3], 0x18
	s_load_b64 s[28:29], s[0:1], 0x4
	s_load_b256 s[20:27], s[2:3], 0x58
	v_bfe_u32 v1, v0, 10, 10
	s_load_b32 s33, s[2:3], 0x88
	v_and_b32_e32 v14, 0x3ff, v0
	s_wait_xcnt 0x0
	s_lshr_b32 s1, ttmp7, 16
	v_bfe_u32 v0, v0, 20, 10
	s_wait_kmcnt 0x0
	v_dual_mov_b32 v2, s4 :: v_dual_mov_b32 v3, s5
	v_mul_u32_u24_e32 v5, s29, v1
	s_lshr_b32 s0, s28, 16
	s_bfe_u32 s5, ttmp6, 0x40008
	s_mul_i32 s0, s0, s29
	v_mov_b32_e32 v4, s22
	v_mad_u32 v6, s0, v14, v5
	s_bfe_u32 s0, ttmp6, 0x40014
	v_mov_b32_e32 v5, s23
	s_add_co_i32 s0, s0, 1
	s_delay_alu instid0(SALU_CYCLE_1) | instskip(SKIP_4) | instid1(VALU_DEP_2)
	s_mul_i32 s4, s1, s0
	s_getreg_b32 s0, hwreg(HW_REG_IB_STS2, 6, 4)
	s_add_co_i32 s5, s5, s4
	s_cmp_eq_u32 s0, 0
	s_cselect_b32 s4, s1, s5
	v_add_lshl_u32 v15, v6, v0, 3
	s_cmp_ge_u32 s4, s33
	s_mov_b32 s5, 0
	ds_store_2addr_stride64_b64 v15, v[4:5], v[2:3] offset1:16
	s_cbranch_scc1 .LBB15_27
; %bb.1:
	s_clause 0x2
	s_load_b32 s1, s[2:3], 0x0
	s_load_b128 s[28:31], s[2:3], 0x8
	s_load_b128 s[36:39], s[2:3], 0x78
	s_wait_xcnt 0x0
	v_cmp_eq_u32_e64 s2, 0, v14
	s_wait_kmcnt 0x0
	s_bitcmp1_b32 s1, 0
	v_sub_nc_u32_e32 v2, s31, v14
	s_cselect_b32 s1, -1, 0
	s_bfe_u32 s22, ttmp6, 0x4000c
	s_and_b32 s23, ttmp6, 15
	s_add_co_i32 s22, s22, 1
	s_lshl_b64 s[26:27], s[26:27], 2
	s_mul_i32 s34, ttmp9, s22
	s_xor_b32 s22, s1, -1
	s_add_co_i32 s23, s23, s34
	s_cmp_eq_u32 s0, 0
	v_ashrrev_i32_e32 v3, 31, v2
	s_cselect_b32 s0, ttmp9, s23
	s_add_co_i32 s23, s31, s30
	v_lshl_add_u32 v0, s0, 4, v1
	s_lshl_b64 s[0:1], s[8:9], 2
	s_add_nc_u64 s[8:9], s[24:25], s[26:27]
	s_delay_alu instid0(VALU_DEP_1) | instskip(NEXT) | instid1(VALU_DEP_1)
	v_ashrrev_i32_e32 v1, 31, v0
	v_mul_u64_e32 v[4:5], s[10:11], v[0:1]
	v_mul_u64_e32 v[8:9], s[36:37], v[0:1]
	s_lshl_b64 s[10:11], s[16:17], 2
	v_sub_nc_u64_e32 v[6:7], v[0:1], v[2:3]
	v_mbcnt_lo_u32_b32 v3, -1, 0
	v_add_nc_u32_e32 v1, 0x2000, v15
	s_delay_alu instid0(VALU_DEP_2) | instskip(NEXT) | instid1(VALU_DEP_4)
	v_lshlrev_b32_e32 v16, 2, v3
	v_mul_u64_e32 v[10:11], s[18:19], v[6:7]
	v_dual_mov_b32 v7, 0 :: v_dual_lshlrev_b32 v6, 2, v14
	s_delay_alu instid0(VALU_DEP_3) | instskip(SKIP_3) | instid1(VALU_DEP_3)
	v_or_b32_e32 v17, 64, v16
	v_lshl_add_u64 v[4:5], v[4:5], 2, s[0:1]
	v_cmp_gt_i32_e64 s0, s29, v0
	v_cmp_ge_i32_e64 s1, s23, v14
	v_add_nc_u64_e32 v[6:7], v[4:5], v[6:7]
	v_lshl_add_u64 v[4:5], v[8:9], 2, s[8:9]
	s_add_nc_u64 s[8:9], s[14:15], s[10:11]
	s_lshl_b64 s[10:11], s[18:19], 8
	v_lshl_add_u64 v[8:9], v[10:11], 2, s[8:9]
	s_lshl_b64 s[8:9], s[20:21], 2
	s_delay_alu instid0(VALU_DEP_3)
	v_add_nc_u64_e32 v[6:7], s[6:7], v[6:7]
	s_lshl_b64 s[6:7], s[12:13], 2
	s_branch .LBB15_4
.LBB15_2:                               ;   in Loop: Header=BB15_4 Depth=1
	s_wait_xcnt 0x0
	s_or_b32 exec_lo, exec_lo, s3
	global_store_b32 v[10:11], v12, off
.LBB15_3:                               ;   in Loop: Header=BB15_4 Depth=1
	s_wait_xcnt 0x0
	s_or_b32 exec_lo, exec_lo, s12
	s_add_co_i32 s4, s4, 0x10000
	s_delay_alu instid0(SALU_CYCLE_1)
	s_cmp_lt_u32 s4, s33
	s_cbranch_scc0 .LBB15_27
.LBB15_4:                               ; =>This Loop Header: Depth=1
                                        ;     Child Loop BB15_16 Depth 2
	s_and_b32 vcc_lo, exec_lo, s22
	s_mov_b32 s3, -1
                                        ; implicit-def: $vgpr18
	s_cbranch_vccnz .LBB15_19
; %bb.5:                                ;   in Loop: Header=BB15_4 Depth=1
	s_and_not1_b32 vcc_lo, exec_lo, s3
	s_cbranch_vccz .LBB15_20
.LBB15_6:                               ;   in Loop: Header=BB15_4 Depth=1
	s_and_b32 vcc_lo, exec_lo, s22
	s_mov_b32 s3, -1
                                        ; implicit-def: $vgpr19
	s_cbranch_vccnz .LBB15_21
.LBB15_7:                               ;   in Loop: Header=BB15_4 Depth=1
	s_and_not1_b32 vcc_lo, exec_lo, s3
	s_cbranch_vccnz .LBB15_9
.LBB15_8:                               ;   in Loop: Header=BB15_4 Depth=1
	s_wait_loadcnt_dscnt 0x0
	ds_load_b32 v19, v15
.LBB15_9:                               ;   in Loop: Header=BB15_4 Depth=1
	s_wait_loadcnt_dscnt 0x0
	v_cmp_neq_f32_e32 vcc_lo, 0, v18
	v_cmp_neq_f32_e64 s3, 1.0, v19
	s_or_b32 s3, vcc_lo, s3
	s_wait_xcnt 0x0
	s_and_saveexec_b32 s12, s3
	s_cbranch_execz .LBB15_3
; %bb.10:                               ;   in Loop: Header=BB15_4 Depth=1
	s_and_b32 exec_lo, exec_lo, s0
	s_cbranch_execz .LBB15_3
; %bb.11:                               ;   in Loop: Header=BB15_4 Depth=1
	v_mov_b32_e32 v12, 0
	s_mov_b32 s13, exec_lo
	v_cmpx_neq_f32_e32 0, v18
	s_cbranch_execz .LBB15_24
; %bb.12:                               ;   in Loop: Header=BB15_4 Depth=1
	v_mov_b32_e32 v20, 0
	s_and_saveexec_b32 s14, s1
	s_cbranch_execz .LBB15_23
; %bb.13:                               ;   in Loop: Header=BB15_4 Depth=1
	v_mad_nc_u64_u32 v[10:11], s6, s4, v[6:7]
	v_mad_nc_u64_u32 v[12:13], s8, s4, v[8:9]
	v_dual_mov_b32 v20, 0 :: v_dual_mov_b32 v21, v2
	v_mov_b32_e32 v22, v14
	s_mov_b32 s15, 0
	s_delay_alu instid0(VALU_DEP_4) | instskip(NEXT) | instid1(VALU_DEP_4)
	v_mad_u32 v11, s7, s4, v11
	v_mad_u32 v13, s9, s4, v13
	s_branch .LBB15_16
.LBB15_14:                              ;   in Loop: Header=BB15_16 Depth=2
	s_wait_xcnt 0x0
	s_or_b32 exec_lo, exec_lo, s3
.LBB15_15:                              ;   in Loop: Header=BB15_16 Depth=2
	s_delay_alu instid0(SALU_CYCLE_1) | instskip(SKIP_4) | instid1(VALU_DEP_4)
	s_or_b32 exec_lo, exec_lo, s16
	v_add_nc_u32_e32 v22, 64, v22
	v_add_nc_u64_e32 v[10:11], 0x100, v[10:11]
	v_add_nc_u64_e32 v[12:13], s[10:11], v[12:13]
	v_subrev_nc_u32_e32 v21, 64, v21
	v_cmp_lt_i32_e32 vcc_lo, s23, v22
	s_or_b32 s15, vcc_lo, s15
	s_delay_alu instid0(SALU_CYCLE_1)
	s_and_not1_b32 exec_lo, exec_lo, s15
	s_cbranch_execz .LBB15_22
.LBB15_16:                              ;   Parent Loop BB15_4 Depth=1
                                        ; =>  This Inner Loop Header: Depth=2
	v_add_nc_u32_e32 v23, s28, v21
	s_mov_b32 s16, exec_lo
	s_delay_alu instid0(VALU_DEP_1)
	v_cmpx_lt_i32_e64 v0, v23
	s_cbranch_execz .LBB15_15
; %bb.17:                               ;   in Loop: Header=BB15_16 Depth=2
	v_cmp_lt_i32_e32 vcc_lo, s31, v22
	v_cmp_ge_i32_e64 s3, v0, v21
	s_or_b32 s17, vcc_lo, s3
	s_delay_alu instid0(SALU_CYCLE_1)
	s_and_saveexec_b32 s3, s17
	s_cbranch_execz .LBB15_14
; %bb.18:                               ;   in Loop: Header=BB15_16 Depth=2
	global_load_b32 v23, v[10:11], off
	global_load_b32 v24, v[12:13], off
	s_wait_loadcnt 0x0
	v_fmac_f32_e32 v20, v23, v24
	s_branch .LBB15_14
.LBB15_19:                              ;   in Loop: Header=BB15_4 Depth=1
	ds_load_b64 v[10:11], v1
	s_wait_dscnt 0x0
	flat_load_b32 v18, v[10:11]
	s_cbranch_execnz .LBB15_6
.LBB15_20:                              ;   in Loop: Header=BB15_4 Depth=1
	s_wait_loadcnt_dscnt 0x0
	ds_load_b32 v18, v1
	s_and_b32 vcc_lo, exec_lo, s22
	s_mov_b32 s3, -1
                                        ; implicit-def: $vgpr19
	s_cbranch_vccz .LBB15_7
.LBB15_21:                              ;   in Loop: Header=BB15_4 Depth=1
	s_wait_xcnt 0x0
	ds_load_b64 v[10:11], v15
	s_wait_dscnt 0x0
	flat_load_b32 v19, v[10:11]
	s_cbranch_execz .LBB15_8
	s_branch .LBB15_9
.LBB15_22:                              ;   in Loop: Header=BB15_4 Depth=1
	s_or_b32 exec_lo, exec_lo, s15
.LBB15_23:                              ;   in Loop: Header=BB15_4 Depth=1
	s_delay_alu instid0(SALU_CYCLE_1)
	s_or_b32 exec_lo, exec_lo, s14
	ds_bpermute_b32 v10, v16, v20
	v_cmp_gt_u32_e32 vcc_lo, 24, v3
	s_wait_dscnt 0x0
	s_barrier_signal -1
	s_barrier_wait -1
	v_cndmask_b32_e64 v12, 0, 8, vcc_lo
	v_cmp_gt_u32_e32 vcc_lo, 28, v3
	s_delay_alu instid0(VALU_DEP_2)
	v_add_lshl_u32 v12, v12, v3, 2
	v_add_f32_e32 v10, v20, v10
	ds_bpermute_b32 v11, v17, v10
	s_wait_dscnt 0x0
	v_add_f32_e32 v10, v10, v11
	ds_bpermute_b32 v11, v12, v10
	v_cndmask_b32_e64 v12, 0, 4, vcc_lo
	v_cmp_gt_u32_e32 vcc_lo, 30, v3
	s_delay_alu instid0(VALU_DEP_2)
	v_add_lshl_u32 v12, v12, v3, 2
	s_wait_dscnt 0x0
	v_add_f32_e32 v10, v10, v11
	ds_bpermute_b32 v11, v12, v10
	v_cndmask_b32_e64 v12, 0, 2, vcc_lo
	v_cmp_ne_u32_e32 vcc_lo, 31, v3
	s_delay_alu instid0(VALU_DEP_2)
	v_add_lshl_u32 v12, v12, v3, 2
	s_wait_dscnt 0x0
	v_add_f32_e32 v10, v10, v11
	ds_bpermute_b32 v11, v12, v10
	v_add_co_ci_u32_e64 v12, null, 0, v3, vcc_lo
	s_wait_dscnt 0x0
	s_delay_alu instid0(VALU_DEP_1) | instskip(SKIP_3) | instid1(VALU_DEP_1)
	v_dual_add_f32 v10, v10, v11 :: v_dual_lshlrev_b32 v11, 2, v12
	ds_bpermute_b32 v11, v11, v10
	s_wait_dscnt 0x0
	v_add_f32_e32 v10, v10, v11
	v_mul_f32_e32 v12, v18, v10
.LBB15_24:                              ;   in Loop: Header=BB15_4 Depth=1
	s_or_b32 exec_lo, exec_lo, s13
	s_delay_alu instid0(SALU_CYCLE_1)
	s_and_b32 exec_lo, exec_lo, s2
	s_cbranch_execz .LBB15_3
; %bb.25:                               ;   in Loop: Header=BB15_4 Depth=1
	s_mul_u64 s[14:15], s[38:39], s[4:5]
	s_mov_b32 s3, exec_lo
	v_lshl_add_u64 v[10:11], s[14:15], 2, v[4:5]
	v_cmpx_neq_f32_e32 0, v19
	s_cbranch_execz .LBB15_2
; %bb.26:                               ;   in Loop: Header=BB15_4 Depth=1
	global_load_b32 v13, v[10:11], off
	s_wait_loadcnt 0x0
	v_fmac_f32_e32 v12, v19, v13
	s_branch .LBB15_2
.LBB15_27:
	s_endpgm
	.section	.rodata,"a",@progbits
	.p2align	6, 0x0
	.amdhsa_kernel _ZL20rocblas_gbmvt_kernelILi64ELi16E24rocblas_internal_val_ptrIfEPKfPfEvb18rocblas_operation_iiiiT1_T2_lllS7_lllS6_T3_llli
		.amdhsa_group_segment_fixed_size 16384
		.amdhsa_private_segment_fixed_size 0
		.amdhsa_kernarg_size 140
		.amdhsa_user_sgpr_count 4
		.amdhsa_user_sgpr_dispatch_ptr 1
		.amdhsa_user_sgpr_queue_ptr 0
		.amdhsa_user_sgpr_kernarg_segment_ptr 1
		.amdhsa_user_sgpr_dispatch_id 0
		.amdhsa_user_sgpr_kernarg_preload_length 0
		.amdhsa_user_sgpr_kernarg_preload_offset 0
		.amdhsa_user_sgpr_private_segment_size 0
		.amdhsa_wavefront_size32 1
		.amdhsa_uses_dynamic_stack 0
		.amdhsa_enable_private_segment 0
		.amdhsa_system_sgpr_workgroup_id_x 1
		.amdhsa_system_sgpr_workgroup_id_y 0
		.amdhsa_system_sgpr_workgroup_id_z 1
		.amdhsa_system_sgpr_workgroup_info 0
		.amdhsa_system_vgpr_workitem_id 2
		.amdhsa_next_free_vgpr 25
		.amdhsa_next_free_sgpr 40
		.amdhsa_named_barrier_count 0
		.amdhsa_reserve_vcc 1
		.amdhsa_float_round_mode_32 0
		.amdhsa_float_round_mode_16_64 0
		.amdhsa_float_denorm_mode_32 3
		.amdhsa_float_denorm_mode_16_64 3
		.amdhsa_fp16_overflow 0
		.amdhsa_memory_ordered 1
		.amdhsa_forward_progress 1
		.amdhsa_inst_pref_size 10
		.amdhsa_round_robin_scheduling 0
		.amdhsa_exception_fp_ieee_invalid_op 0
		.amdhsa_exception_fp_denorm_src 0
		.amdhsa_exception_fp_ieee_div_zero 0
		.amdhsa_exception_fp_ieee_overflow 0
		.amdhsa_exception_fp_ieee_underflow 0
		.amdhsa_exception_fp_ieee_inexact 0
		.amdhsa_exception_int_div_zero 0
	.end_amdhsa_kernel
	.section	.text._ZL20rocblas_gbmvt_kernelILi64ELi16E24rocblas_internal_val_ptrIfEPKfPfEvb18rocblas_operation_iiiiT1_T2_lllS7_lllS6_T3_llli,"axG",@progbits,_ZL20rocblas_gbmvt_kernelILi64ELi16E24rocblas_internal_val_ptrIfEPKfPfEvb18rocblas_operation_iiiiT1_T2_lllS7_lllS6_T3_llli,comdat
.Lfunc_end15:
	.size	_ZL20rocblas_gbmvt_kernelILi64ELi16E24rocblas_internal_val_ptrIfEPKfPfEvb18rocblas_operation_iiiiT1_T2_lllS7_lllS6_T3_llli, .Lfunc_end15-_ZL20rocblas_gbmvt_kernelILi64ELi16E24rocblas_internal_val_ptrIfEPKfPfEvb18rocblas_operation_iiiiT1_T2_lllS7_lllS6_T3_llli
                                        ; -- End function
	.set _ZL20rocblas_gbmvt_kernelILi64ELi16E24rocblas_internal_val_ptrIfEPKfPfEvb18rocblas_operation_iiiiT1_T2_lllS7_lllS6_T3_llli.num_vgpr, 25
	.set _ZL20rocblas_gbmvt_kernelILi64ELi16E24rocblas_internal_val_ptrIfEPKfPfEvb18rocblas_operation_iiiiT1_T2_lllS7_lllS6_T3_llli.num_agpr, 0
	.set _ZL20rocblas_gbmvt_kernelILi64ELi16E24rocblas_internal_val_ptrIfEPKfPfEvb18rocblas_operation_iiiiT1_T2_lllS7_lllS6_T3_llli.numbered_sgpr, 40
	.set _ZL20rocblas_gbmvt_kernelILi64ELi16E24rocblas_internal_val_ptrIfEPKfPfEvb18rocblas_operation_iiiiT1_T2_lllS7_lllS6_T3_llli.num_named_barrier, 0
	.set _ZL20rocblas_gbmvt_kernelILi64ELi16E24rocblas_internal_val_ptrIfEPKfPfEvb18rocblas_operation_iiiiT1_T2_lllS7_lllS6_T3_llli.private_seg_size, 0
	.set _ZL20rocblas_gbmvt_kernelILi64ELi16E24rocblas_internal_val_ptrIfEPKfPfEvb18rocblas_operation_iiiiT1_T2_lllS7_lllS6_T3_llli.uses_vcc, 1
	.set _ZL20rocblas_gbmvt_kernelILi64ELi16E24rocblas_internal_val_ptrIfEPKfPfEvb18rocblas_operation_iiiiT1_T2_lllS7_lllS6_T3_llli.uses_flat_scratch, 0
	.set _ZL20rocblas_gbmvt_kernelILi64ELi16E24rocblas_internal_val_ptrIfEPKfPfEvb18rocblas_operation_iiiiT1_T2_lllS7_lllS6_T3_llli.has_dyn_sized_stack, 0
	.set _ZL20rocblas_gbmvt_kernelILi64ELi16E24rocblas_internal_val_ptrIfEPKfPfEvb18rocblas_operation_iiiiT1_T2_lllS7_lllS6_T3_llli.has_recursion, 0
	.set _ZL20rocblas_gbmvt_kernelILi64ELi16E24rocblas_internal_val_ptrIfEPKfPfEvb18rocblas_operation_iiiiT1_T2_lllS7_lllS6_T3_llli.has_indirect_call, 0
	.section	.AMDGPU.csdata,"",@progbits
; Kernel info:
; codeLenInByte = 1172
; TotalNumSgprs: 42
; NumVgprs: 25
; ScratchSize: 0
; MemoryBound: 0
; FloatMode: 240
; IeeeMode: 1
; LDSByteSize: 16384 bytes/workgroup (compile time only)
; SGPRBlocks: 0
; VGPRBlocks: 1
; NumSGPRsForWavesPerEU: 42
; NumVGPRsForWavesPerEU: 25
; NamedBarCnt: 0
; Occupancy: 16
; WaveLimiterHint : 0
; COMPUTE_PGM_RSRC2:SCRATCH_EN: 0
; COMPUTE_PGM_RSRC2:USER_SGPR: 4
; COMPUTE_PGM_RSRC2:TRAP_HANDLER: 0
; COMPUTE_PGM_RSRC2:TGID_X_EN: 1
; COMPUTE_PGM_RSRC2:TGID_Y_EN: 0
; COMPUTE_PGM_RSRC2:TGID_Z_EN: 1
; COMPUTE_PGM_RSRC2:TIDIG_COMP_CNT: 2
	.section	.text._ZL20rocblas_gbmvn_kernelILi32ELi32E24rocblas_internal_val_ptrIdEPKdPdEvbiiiiT1_T2_lllS6_lllS5_T3_llli,"axG",@progbits,_ZL20rocblas_gbmvn_kernelILi32ELi32E24rocblas_internal_val_ptrIdEPKdPdEvbiiiiT1_T2_lllS6_lllS5_T3_llli,comdat
	.globl	_ZL20rocblas_gbmvn_kernelILi32ELi32E24rocblas_internal_val_ptrIdEPKdPdEvbiiiiT1_T2_lllS6_lllS5_T3_llli ; -- Begin function _ZL20rocblas_gbmvn_kernelILi32ELi32E24rocblas_internal_val_ptrIdEPKdPdEvbiiiiT1_T2_lllS6_lllS5_T3_llli
	.p2align	8
	.type	_ZL20rocblas_gbmvn_kernelILi32ELi32E24rocblas_internal_val_ptrIdEPKdPdEvbiiiiT1_T2_lllS6_lllS5_T3_llli,@function
_ZL20rocblas_gbmvn_kernelILi32ELi32E24rocblas_internal_val_ptrIdEPKdPdEvbiiiiT1_T2_lllS6_lllS5_T3_llli: ; @_ZL20rocblas_gbmvn_kernelILi32ELi32E24rocblas_internal_val_ptrIdEPKdPdEvbiiiiT1_T2_lllS6_lllS5_T3_llli
; %bb.0:
	s_load_b512 s[4:19], s[2:3], 0x18
	s_load_b64 s[28:29], s[0:1], 0x4
	s_load_b256 s[20:27], s[2:3], 0x58
	v_bfe_u32 v1, v0, 10, 10
	s_load_b32 s33, s[2:3], 0x88
	v_and_b32_e32 v2, 0x3ff, v0
	s_wait_xcnt 0x0
	s_lshr_b32 s1, ttmp7, 16
	v_bfe_u32 v0, v0, 20, 10
	s_wait_kmcnt 0x0
	v_dual_mov_b32 v4, s4 :: v_dual_mov_b32 v5, s5
	v_mul_u32_u24_e32 v3, s29, v1
	s_lshr_b32 s0, s28, 16
	s_bfe_u32 s5, ttmp6, 0x40008
	s_mul_i32 s0, s0, s29
	v_dual_mov_b32 v6, s22 :: v_dual_mov_b32 v7, s23
	v_mad_u32 v3, s0, v2, v3
	s_bfe_u32 s0, ttmp6, 0x40014
	s_delay_alu instid0(SALU_CYCLE_1) | instskip(NEXT) | instid1(SALU_CYCLE_1)
	s_add_co_i32 s0, s0, 1
	s_mul_i32 s4, s1, s0
	s_getreg_b32 s0, hwreg(HW_REG_IB_STS2, 6, 4)
	s_add_co_i32 s5, s5, s4
	s_cmp_eq_u32 s0, 0
	s_cselect_b32 s4, s1, s5
	s_delay_alu instid0(VALU_DEP_1)
	v_add_lshl_u32 v20, v3, v0, 3
	s_cmp_ge_u32 s4, s33
	s_mov_b32 s5, 0
	ds_store_2addr_stride64_b64 v20, v[6:7], v[4:5] offset1:16
	s_cbranch_scc1 .LBB16_25
; %bb.1:
	s_clause 0x2
	s_load_b128 s[28:31], s[2:3], 0x0
	s_load_b32 s1, s[2:3], 0x10
	s_load_b128 s[36:39], s[2:3], 0x78
	v_mbcnt_lo_u32_b32 v21, -1, 0
	v_mov_b32_e32 v3, 0
	s_wait_kmcnt 0x0
	s_bitcmp1_b32 s28, 0
	s_cselect_b32 s22, -1, 0
	s_bfe_u32 s23, ttmp6, 0x4000c
	s_and_b32 s28, ttmp6, 15
	s_add_co_i32 s23, s23, 1
	s_lshl_b64 s[26:27], s[26:27], 3
	s_mul_i32 s23, ttmp9, s23
	s_xor_b32 s22, s22, -1
	s_add_co_i32 s28, s28, s23
	s_cmp_eq_u32 s0, 0
	s_add_nc_u64 s[24:25], s[24:25], s[26:27]
	s_cselect_b32 s0, ttmp9, s28
	s_lshl_b64 s[8:9], s[8:9], 3
	v_lshl_add_u32 v4, s0, 5, v1
	v_cmp_eq_u32_e64 s0, 0, v2
	s_lshl_b64 s[2:3], s[16:17], 3
	s_lshl_b64 s[16:17], s[18:19], 8
	v_subrev_nc_u32_e32 v0, s31, v4
	v_ashrrev_i32_e32 v5, 31, v4
	s_delay_alu instid0(VALU_DEP_2) | instskip(NEXT) | instid1(VALU_DEP_2)
	v_max_i32_e32 v0, 0, v0
	v_mul_u64_e32 v[8:9], s[36:37], v[4:5]
	s_delay_alu instid0(VALU_DEP_2) | instskip(SKIP_2) | instid1(VALU_DEP_2)
	v_dual_add_nc_u32 v0, v0, v2 :: v_dual_min_i32 v5, s31, v4
	v_sub_nc_u32_e32 v2, s1, v2
	v_cmp_gt_i32_e64 s1, s29, v4
	v_dual_ashrrev_i32 v1, 31, v0 :: v_dual_add_nc_u32 v2, v2, v5
	s_delay_alu instid0(VALU_DEP_1)
	v_mul_u64_e32 v[6:7], s[10:11], v[0:1]
	v_mul_u64_e32 v[10:11], s[18:19], v[0:1]
	s_lshl_b64 s[18:19], s[10:11], 8
	s_add_nc_u64 s[10:11], s[14:15], s[2:3]
	v_add_nc_u32_e32 v1, 0x2000, v20
	v_cmp_lt_i32_e64 s2, -1, v2
	s_mov_b64 s[14:15], 0xffffffffffffff00
	v_lshl_add_u64 v[4:5], v[8:9], 3, s[24:25]
	v_lshl_add_u64 v[6:7], v[6:7], 3, s[8:9]
	s_lshl_b64 s[8:9], s[20:21], 3
	s_delay_alu instid0(VALU_DEP_1)
	v_lshl_add_u64 v[12:13], v[2:3], 3, v[6:7]
	v_lshl_add_u64 v[6:7], v[10:11], 3, s[10:11]
	v_lshl_or_b32 v3, v21, 2, 64
	s_lshl_b64 s[10:11], s[12:13], 3
	s_add_nc_u64 s[12:13], s[18:19], s[14:15]
	v_add_nc_u64_e32 v[8:9], s[6:7], v[12:13]
	s_mov_b64 s[6:7], 0xffffffffffffffe0
	s_branch .LBB16_4
.LBB16_2:                               ;   in Loop: Header=BB16_4 Depth=1
	s_wait_xcnt 0x0
	s_or_b32 exec_lo, exec_lo, s14
	global_store_b64 v[10:11], v[14:15], off
.LBB16_3:                               ;   in Loop: Header=BB16_4 Depth=1
	s_wait_xcnt 0x0
	s_or_b32 exec_lo, exec_lo, s3
	s_add_co_i32 s4, s4, 0x10000
	s_delay_alu instid0(SALU_CYCLE_1)
	s_cmp_lt_u32 s4, s33
	s_cbranch_scc0 .LBB16_25
.LBB16_4:                               ; =>This Loop Header: Depth=1
                                        ;     Child Loop BB16_15 Depth 2
	s_and_b32 vcc_lo, exec_lo, s22
	s_mov_b32 s3, -1
                                        ; implicit-def: $vgpr10_vgpr11
	s_cbranch_vccnz .LBB16_17
; %bb.5:                                ;   in Loop: Header=BB16_4 Depth=1
	s_and_not1_b32 vcc_lo, exec_lo, s3
	s_cbranch_vccz .LBB16_18
.LBB16_6:                               ;   in Loop: Header=BB16_4 Depth=1
	s_and_b32 vcc_lo, exec_lo, s22
	s_mov_b32 s3, -1
                                        ; implicit-def: $vgpr12_vgpr13
	s_cbranch_vccnz .LBB16_19
.LBB16_7:                               ;   in Loop: Header=BB16_4 Depth=1
	s_and_not1_b32 vcc_lo, exec_lo, s3
	s_cbranch_vccnz .LBB16_9
.LBB16_8:                               ;   in Loop: Header=BB16_4 Depth=1
	s_wait_loadcnt_dscnt 0x0
	s_wait_xcnt 0x0
	ds_load_b64 v[12:13], v20
.LBB16_9:                               ;   in Loop: Header=BB16_4 Depth=1
	s_wait_loadcnt_dscnt 0x0
	v_cmp_neq_f64_e32 vcc_lo, 0, v[10:11]
	v_cmp_neq_f64_e64 s3, 1.0, v[12:13]
	s_or_b32 s14, vcc_lo, s3
	s_wait_xcnt 0x0
	s_and_saveexec_b32 s3, s14
	s_cbranch_execz .LBB16_3
; %bb.10:                               ;   in Loop: Header=BB16_4 Depth=1
	s_and_b32 exec_lo, exec_lo, s1
	s_cbranch_execz .LBB16_3
; %bb.11:                               ;   in Loop: Header=BB16_4 Depth=1
	v_mov_b64_e32 v[14:15], 0
	s_mov_b32 s18, exec_lo
	v_cmpx_neq_f64_e32 0, v[10:11]
	s_cbranch_execz .LBB16_22
; %bb.12:                               ;   in Loop: Header=BB16_4 Depth=1
	v_mov_b64_e32 v[14:15], 0
	s_and_saveexec_b32 s19, s2
	s_cbranch_execz .LBB16_21
; %bb.13:                               ;   in Loop: Header=BB16_4 Depth=1
	v_mad_nc_u64_u32 v[16:17], s8, s4, v[6:7]
	v_mad_nc_u64_u32 v[18:19], s10, s4, v[8:9]
	v_mov_b64_e32 v[14:15], 0
	v_mov_b32_e32 v22, v0
	s_mov_b64 s[14:15], 0
	s_mov_b32 s20, 0
	s_delay_alu instid0(VALU_DEP_4) | instskip(NEXT) | instid1(VALU_DEP_4)
	v_mad_u32 v17, s9, s4, v17
	v_mad_u32 v19, s11, s4, v19
	s_branch .LBB16_15
.LBB16_14:                              ;   in Loop: Header=BB16_15 Depth=2
	s_wait_xcnt 0x0
	s_or_b32 exec_lo, exec_lo, s21
	s_add_nc_u64 s[14:15], s[14:15], s[6:7]
	s_delay_alu instid0(VALU_DEP_3) | instskip(SKIP_1) | instid1(VALU_DEP_4)
	v_add_nc_u64_e32 v[16:17], s[16:17], v[16:17]
	v_add3_u32 v23, v2, s14, 32
	v_add_nc_u64_e32 v[18:19], s[12:13], v[18:19]
	v_add_nc_u32_e32 v22, 32, v22
	s_delay_alu instid0(VALU_DEP_3) | instskip(SKIP_1) | instid1(SALU_CYCLE_1)
	v_cmp_gt_u32_e32 vcc_lo, 32, v23
	s_or_b32 s20, vcc_lo, s20
	s_and_not1_b32 exec_lo, exec_lo, s20
	s_cbranch_execz .LBB16_20
.LBB16_15:                              ;   Parent Loop BB16_4 Depth=1
                                        ; =>  This Inner Loop Header: Depth=2
	s_mov_b32 s21, exec_lo
	v_cmpx_gt_i32_e64 s30, v22
	s_cbranch_execz .LBB16_14
; %bb.16:                               ;   in Loop: Header=BB16_15 Depth=2
	global_load_b64 v[24:25], v[18:19], off
	global_load_b64 v[26:27], v[16:17], off
	s_wait_loadcnt 0x0
	v_fmac_f64_e32 v[14:15], v[24:25], v[26:27]
	s_branch .LBB16_14
.LBB16_17:                              ;   in Loop: Header=BB16_4 Depth=1
	ds_load_b64 v[10:11], v1
	s_wait_dscnt 0x0
	flat_load_b64 v[10:11], v[10:11]
	s_cbranch_execnz .LBB16_6
.LBB16_18:                              ;   in Loop: Header=BB16_4 Depth=1
	s_wait_loadcnt_dscnt 0x0
	s_wait_xcnt 0x0
	ds_load_b64 v[10:11], v1
	s_and_b32 vcc_lo, exec_lo, s22
	s_mov_b32 s3, -1
                                        ; implicit-def: $vgpr12_vgpr13
	s_cbranch_vccz .LBB16_7
.LBB16_19:                              ;   in Loop: Header=BB16_4 Depth=1
	ds_load_b64 v[12:13], v20
	s_wait_dscnt 0x0
	flat_load_b64 v[12:13], v[12:13]
	s_cbranch_execz .LBB16_8
	s_branch .LBB16_9
.LBB16_20:                              ;   in Loop: Header=BB16_4 Depth=1
	s_or_b32 exec_lo, exec_lo, s20
.LBB16_21:                              ;   in Loop: Header=BB16_4 Depth=1
	s_delay_alu instid0(SALU_CYCLE_1)
	s_or_b32 exec_lo, exec_lo, s19
	ds_bpermute_b32 v16, v3, v14
	ds_bpermute_b32 v17, v3, v15
	v_cmp_gt_u32_e32 vcc_lo, 24, v21
	s_wait_dscnt 0x0
	s_barrier_signal -1
	s_barrier_wait -1
	v_add_f64_e32 v[14:15], v[14:15], v[16:17]
	v_cndmask_b32_e64 v16, 0, 8, vcc_lo
	v_cmp_gt_u32_e32 vcc_lo, 28, v21
	s_delay_alu instid0(VALU_DEP_2)
	v_add_lshl_u32 v17, v16, v21, 2
	ds_bpermute_b32 v16, v17, v14
	ds_bpermute_b32 v17, v17, v15
	s_wait_dscnt 0x0
	v_add_f64_e32 v[14:15], v[14:15], v[16:17]
	v_cndmask_b32_e64 v16, 0, 4, vcc_lo
	v_cmp_gt_u32_e32 vcc_lo, 30, v21
	s_delay_alu instid0(VALU_DEP_2)
	v_add_lshl_u32 v17, v16, v21, 2
	ds_bpermute_b32 v16, v17, v14
	ds_bpermute_b32 v17, v17, v15
	s_wait_dscnt 0x0
	v_add_f64_e32 v[14:15], v[14:15], v[16:17]
	v_cndmask_b32_e64 v16, 0, 2, vcc_lo
	v_cmp_ne_u32_e32 vcc_lo, 31, v21
	s_delay_alu instid0(VALU_DEP_2)
	v_add_lshl_u32 v17, v16, v21, 2
	ds_bpermute_b32 v16, v17, v14
	ds_bpermute_b32 v17, v17, v15
	s_wait_dscnt 0x0
	v_add_f64_e32 v[14:15], v[14:15], v[16:17]
	v_add_co_ci_u32_e64 v16, null, 0, v21, vcc_lo
	s_delay_alu instid0(VALU_DEP_1) | instskip(SKIP_4) | instid1(VALU_DEP_1)
	v_lshlrev_b32_e32 v17, 2, v16
	ds_bpermute_b32 v16, v17, v14
	ds_bpermute_b32 v17, v17, v15
	s_wait_dscnt 0x0
	v_add_f64_e32 v[14:15], v[14:15], v[16:17]
	v_mul_f64_e32 v[14:15], v[10:11], v[14:15]
.LBB16_22:                              ;   in Loop: Header=BB16_4 Depth=1
	s_or_b32 exec_lo, exec_lo, s18
	s_delay_alu instid0(SALU_CYCLE_1)
	s_and_b32 exec_lo, exec_lo, s0
	s_cbranch_execz .LBB16_3
; %bb.23:                               ;   in Loop: Header=BB16_4 Depth=1
	s_mul_u64 s[14:15], s[38:39], s[4:5]
	s_delay_alu instid0(SALU_CYCLE_1)
	v_lshl_add_u64 v[10:11], s[14:15], 3, v[4:5]
	s_mov_b32 s14, exec_lo
	v_cmpx_neq_f64_e32 0, v[12:13]
	s_cbranch_execz .LBB16_2
; %bb.24:                               ;   in Loop: Header=BB16_4 Depth=1
	global_load_b64 v[16:17], v[10:11], off
	s_wait_loadcnt 0x0
	v_fmac_f64_e32 v[14:15], v[12:13], v[16:17]
	s_branch .LBB16_2
.LBB16_25:
	s_endpgm
	.section	.rodata,"a",@progbits
	.p2align	6, 0x0
	.amdhsa_kernel _ZL20rocblas_gbmvn_kernelILi32ELi32E24rocblas_internal_val_ptrIdEPKdPdEvbiiiiT1_T2_lllS6_lllS5_T3_llli
		.amdhsa_group_segment_fixed_size 16384
		.amdhsa_private_segment_fixed_size 0
		.amdhsa_kernarg_size 140
		.amdhsa_user_sgpr_count 4
		.amdhsa_user_sgpr_dispatch_ptr 1
		.amdhsa_user_sgpr_queue_ptr 0
		.amdhsa_user_sgpr_kernarg_segment_ptr 1
		.amdhsa_user_sgpr_dispatch_id 0
		.amdhsa_user_sgpr_kernarg_preload_length 0
		.amdhsa_user_sgpr_kernarg_preload_offset 0
		.amdhsa_user_sgpr_private_segment_size 0
		.amdhsa_wavefront_size32 1
		.amdhsa_uses_dynamic_stack 0
		.amdhsa_enable_private_segment 0
		.amdhsa_system_sgpr_workgroup_id_x 1
		.amdhsa_system_sgpr_workgroup_id_y 0
		.amdhsa_system_sgpr_workgroup_id_z 1
		.amdhsa_system_sgpr_workgroup_info 0
		.amdhsa_system_vgpr_workitem_id 2
		.amdhsa_next_free_vgpr 28
		.amdhsa_next_free_sgpr 40
		.amdhsa_named_barrier_count 0
		.amdhsa_reserve_vcc 1
		.amdhsa_float_round_mode_32 0
		.amdhsa_float_round_mode_16_64 0
		.amdhsa_float_denorm_mode_32 3
		.amdhsa_float_denorm_mode_16_64 3
		.amdhsa_fp16_overflow 0
		.amdhsa_memory_ordered 1
		.amdhsa_forward_progress 1
		.amdhsa_inst_pref_size 10
		.amdhsa_round_robin_scheduling 0
		.amdhsa_exception_fp_ieee_invalid_op 0
		.amdhsa_exception_fp_denorm_src 0
		.amdhsa_exception_fp_ieee_div_zero 0
		.amdhsa_exception_fp_ieee_overflow 0
		.amdhsa_exception_fp_ieee_underflow 0
		.amdhsa_exception_fp_ieee_inexact 0
		.amdhsa_exception_int_div_zero 0
	.end_amdhsa_kernel
	.section	.text._ZL20rocblas_gbmvn_kernelILi32ELi32E24rocblas_internal_val_ptrIdEPKdPdEvbiiiiT1_T2_lllS6_lllS5_T3_llli,"axG",@progbits,_ZL20rocblas_gbmvn_kernelILi32ELi32E24rocblas_internal_val_ptrIdEPKdPdEvbiiiiT1_T2_lllS6_lllS5_T3_llli,comdat
.Lfunc_end16:
	.size	_ZL20rocblas_gbmvn_kernelILi32ELi32E24rocblas_internal_val_ptrIdEPKdPdEvbiiiiT1_T2_lllS6_lllS5_T3_llli, .Lfunc_end16-_ZL20rocblas_gbmvn_kernelILi32ELi32E24rocblas_internal_val_ptrIdEPKdPdEvbiiiiT1_T2_lllS6_lllS5_T3_llli
                                        ; -- End function
	.set _ZL20rocblas_gbmvn_kernelILi32ELi32E24rocblas_internal_val_ptrIdEPKdPdEvbiiiiT1_T2_lllS6_lllS5_T3_llli.num_vgpr, 28
	.set _ZL20rocblas_gbmvn_kernelILi32ELi32E24rocblas_internal_val_ptrIdEPKdPdEvbiiiiT1_T2_lllS6_lllS5_T3_llli.num_agpr, 0
	.set _ZL20rocblas_gbmvn_kernelILi32ELi32E24rocblas_internal_val_ptrIdEPKdPdEvbiiiiT1_T2_lllS6_lllS5_T3_llli.numbered_sgpr, 40
	.set _ZL20rocblas_gbmvn_kernelILi32ELi32E24rocblas_internal_val_ptrIdEPKdPdEvbiiiiT1_T2_lllS6_lllS5_T3_llli.num_named_barrier, 0
	.set _ZL20rocblas_gbmvn_kernelILi32ELi32E24rocblas_internal_val_ptrIdEPKdPdEvbiiiiT1_T2_lllS6_lllS5_T3_llli.private_seg_size, 0
	.set _ZL20rocblas_gbmvn_kernelILi32ELi32E24rocblas_internal_val_ptrIdEPKdPdEvbiiiiT1_T2_lllS6_lllS5_T3_llli.uses_vcc, 1
	.set _ZL20rocblas_gbmvn_kernelILi32ELi32E24rocblas_internal_val_ptrIdEPKdPdEvbiiiiT1_T2_lllS6_lllS5_T3_llli.uses_flat_scratch, 0
	.set _ZL20rocblas_gbmvn_kernelILi32ELi32E24rocblas_internal_val_ptrIdEPKdPdEvbiiiiT1_T2_lllS6_lllS5_T3_llli.has_dyn_sized_stack, 0
	.set _ZL20rocblas_gbmvn_kernelILi32ELi32E24rocblas_internal_val_ptrIdEPKdPdEvbiiiiT1_T2_lllS6_lllS5_T3_llli.has_recursion, 0
	.set _ZL20rocblas_gbmvn_kernelILi32ELi32E24rocblas_internal_val_ptrIdEPKdPdEvbiiiiT1_T2_lllS6_lllS5_T3_llli.has_indirect_call, 0
	.section	.AMDGPU.csdata,"",@progbits
; Kernel info:
; codeLenInByte = 1212
; TotalNumSgprs: 42
; NumVgprs: 28
; ScratchSize: 0
; MemoryBound: 1
; FloatMode: 240
; IeeeMode: 1
; LDSByteSize: 16384 bytes/workgroup (compile time only)
; SGPRBlocks: 0
; VGPRBlocks: 1
; NumSGPRsForWavesPerEU: 42
; NumVGPRsForWavesPerEU: 28
; NamedBarCnt: 0
; Occupancy: 16
; WaveLimiterHint : 0
; COMPUTE_PGM_RSRC2:SCRATCH_EN: 0
; COMPUTE_PGM_RSRC2:USER_SGPR: 4
; COMPUTE_PGM_RSRC2:TRAP_HANDLER: 0
; COMPUTE_PGM_RSRC2:TGID_X_EN: 1
; COMPUTE_PGM_RSRC2:TGID_Y_EN: 0
; COMPUTE_PGM_RSRC2:TGID_Z_EN: 1
; COMPUTE_PGM_RSRC2:TIDIG_COMP_CNT: 2
	.section	.text._ZL20rocblas_gbmvn_kernelILi64ELi16E24rocblas_internal_val_ptrIdEPKdPdEvbiiiiT1_T2_lllS6_lllS5_T3_llli,"axG",@progbits,_ZL20rocblas_gbmvn_kernelILi64ELi16E24rocblas_internal_val_ptrIdEPKdPdEvbiiiiT1_T2_lllS6_lllS5_T3_llli,comdat
	.globl	_ZL20rocblas_gbmvn_kernelILi64ELi16E24rocblas_internal_val_ptrIdEPKdPdEvbiiiiT1_T2_lllS6_lllS5_T3_llli ; -- Begin function _ZL20rocblas_gbmvn_kernelILi64ELi16E24rocblas_internal_val_ptrIdEPKdPdEvbiiiiT1_T2_lllS6_lllS5_T3_llli
	.p2align	8
	.type	_ZL20rocblas_gbmvn_kernelILi64ELi16E24rocblas_internal_val_ptrIdEPKdPdEvbiiiiT1_T2_lllS6_lllS5_T3_llli,@function
_ZL20rocblas_gbmvn_kernelILi64ELi16E24rocblas_internal_val_ptrIdEPKdPdEvbiiiiT1_T2_lllS6_lllS5_T3_llli: ; @_ZL20rocblas_gbmvn_kernelILi64ELi16E24rocblas_internal_val_ptrIdEPKdPdEvbiiiiT1_T2_lllS6_lllS5_T3_llli
; %bb.0:
	s_load_b512 s[4:19], s[2:3], 0x18
	s_load_b64 s[28:29], s[0:1], 0x4
	s_load_b256 s[20:27], s[2:3], 0x58
	v_bfe_u32 v1, v0, 10, 10
	s_load_b32 s33, s[2:3], 0x88
	v_and_b32_e32 v2, 0x3ff, v0
	s_wait_xcnt 0x0
	s_lshr_b32 s1, ttmp7, 16
	v_bfe_u32 v0, v0, 20, 10
	s_wait_kmcnt 0x0
	v_dual_mov_b32 v4, s4 :: v_dual_mov_b32 v5, s5
	v_mul_u32_u24_e32 v3, s29, v1
	s_lshr_b32 s0, s28, 16
	s_bfe_u32 s5, ttmp6, 0x40008
	s_mul_i32 s0, s0, s29
	v_dual_mov_b32 v6, s22 :: v_dual_mov_b32 v7, s23
	v_mad_u32 v3, s0, v2, v3
	s_bfe_u32 s0, ttmp6, 0x40014
	s_delay_alu instid0(SALU_CYCLE_1) | instskip(NEXT) | instid1(SALU_CYCLE_1)
	s_add_co_i32 s0, s0, 1
	s_mul_i32 s4, s1, s0
	s_getreg_b32 s0, hwreg(HW_REG_IB_STS2, 6, 4)
	s_add_co_i32 s5, s5, s4
	s_cmp_eq_u32 s0, 0
	s_cselect_b32 s4, s1, s5
	s_delay_alu instid0(VALU_DEP_1)
	v_add_lshl_u32 v20, v3, v0, 3
	s_cmp_ge_u32 s4, s33
	s_mov_b32 s5, 0
	ds_store_2addr_stride64_b64 v20, v[6:7], v[4:5] offset1:16
	s_cbranch_scc1 .LBB17_25
; %bb.1:
	s_clause 0x2
	s_load_b128 s[28:31], s[2:3], 0x0
	s_load_b32 s1, s[2:3], 0x10
	s_load_b128 s[36:39], s[2:3], 0x78
	v_mbcnt_lo_u32_b32 v21, -1, 0
	s_delay_alu instid0(VALU_DEP_1)
	v_dual_mov_b32 v3, 0 :: v_dual_lshlrev_b32 v22, 2, v21
	s_wait_kmcnt 0x0
	s_bitcmp1_b32 s28, 0
	s_cselect_b32 s22, -1, 0
	s_bfe_u32 s23, ttmp6, 0x4000c
	s_and_b32 s28, ttmp6, 15
	s_add_co_i32 s23, s23, 1
	s_lshl_b64 s[26:27], s[26:27], 3
	s_mul_i32 s23, ttmp9, s23
	s_xor_b32 s22, s22, -1
	s_add_co_i32 s28, s28, s23
	s_cmp_eq_u32 s0, 0
	s_add_nc_u64 s[24:25], s[24:25], s[26:27]
	s_cselect_b32 s0, ttmp9, s28
	s_lshl_b64 s[8:9], s[8:9], 3
	v_lshl_add_u32 v4, s0, 4, v1
	v_cmp_eq_u32_e64 s0, 0, v2
	s_lshl_b64 s[2:3], s[16:17], 3
	s_lshl_b64 s[16:17], s[18:19], 9
	v_subrev_nc_u32_e32 v0, s31, v4
	v_ashrrev_i32_e32 v5, 31, v4
	s_delay_alu instid0(VALU_DEP_2) | instskip(NEXT) | instid1(VALU_DEP_2)
	v_max_i32_e32 v0, 0, v0
	v_mul_u64_e32 v[8:9], s[36:37], v[4:5]
	s_delay_alu instid0(VALU_DEP_2) | instskip(SKIP_2) | instid1(VALU_DEP_2)
	v_dual_add_nc_u32 v0, v0, v2 :: v_dual_min_i32 v5, s31, v4
	v_sub_nc_u32_e32 v2, s1, v2
	v_cmp_gt_i32_e64 s1, s29, v4
	v_dual_ashrrev_i32 v1, 31, v0 :: v_dual_add_nc_u32 v2, v2, v5
	s_delay_alu instid0(VALU_DEP_1)
	v_mul_u64_e32 v[6:7], s[10:11], v[0:1]
	v_mul_u64_e32 v[10:11], s[18:19], v[0:1]
	s_lshl_b64 s[18:19], s[10:11], 9
	s_add_nc_u64 s[10:11], s[14:15], s[2:3]
	v_add_nc_u32_e32 v1, 0x2000, v20
	s_mov_b64 s[14:15], 0xfffffffffffffe00
	v_lshl_add_u64 v[4:5], v[8:9], 3, s[24:25]
	s_delay_alu instid0(VALU_DEP_4) | instskip(SKIP_1) | instid1(VALU_DEP_1)
	v_lshl_add_u64 v[6:7], v[6:7], 3, s[8:9]
	s_lshl_b64 s[8:9], s[20:21], 3
	v_lshl_add_u64 v[12:13], v[2:3], 3, v[6:7]
	v_lshl_add_u64 v[6:7], v[10:11], 3, s[10:11]
	v_or_b32_e32 v3, 64, v22
	v_cmp_lt_i32_e64 s2, -1, v2
	s_lshl_b64 s[10:11], s[12:13], 3
	v_add_nc_u64_e32 v[8:9], s[6:7], v[12:13]
	s_mov_b64 s[6:7], 0xffffffffffffffc0
	s_add_nc_u64 s[12:13], s[18:19], s[14:15]
	s_branch .LBB17_4
.LBB17_2:                               ;   in Loop: Header=BB17_4 Depth=1
	s_wait_xcnt 0x0
	s_or_b32 exec_lo, exec_lo, s14
	global_store_b64 v[10:11], v[14:15], off
.LBB17_3:                               ;   in Loop: Header=BB17_4 Depth=1
	s_wait_xcnt 0x0
	s_or_b32 exec_lo, exec_lo, s3
	s_add_co_i32 s4, s4, 0x10000
	s_delay_alu instid0(SALU_CYCLE_1)
	s_cmp_lt_u32 s4, s33
	s_cbranch_scc0 .LBB17_25
.LBB17_4:                               ; =>This Loop Header: Depth=1
                                        ;     Child Loop BB17_15 Depth 2
	s_and_b32 vcc_lo, exec_lo, s22
	s_mov_b32 s3, -1
                                        ; implicit-def: $vgpr10_vgpr11
	s_cbranch_vccnz .LBB17_17
; %bb.5:                                ;   in Loop: Header=BB17_4 Depth=1
	s_and_not1_b32 vcc_lo, exec_lo, s3
	s_cbranch_vccz .LBB17_18
.LBB17_6:                               ;   in Loop: Header=BB17_4 Depth=1
	s_and_b32 vcc_lo, exec_lo, s22
	s_mov_b32 s3, -1
                                        ; implicit-def: $vgpr12_vgpr13
	s_cbranch_vccnz .LBB17_19
.LBB17_7:                               ;   in Loop: Header=BB17_4 Depth=1
	s_and_not1_b32 vcc_lo, exec_lo, s3
	s_cbranch_vccnz .LBB17_9
.LBB17_8:                               ;   in Loop: Header=BB17_4 Depth=1
	s_wait_loadcnt_dscnt 0x0
	s_wait_xcnt 0x0
	ds_load_b64 v[12:13], v20
.LBB17_9:                               ;   in Loop: Header=BB17_4 Depth=1
	s_wait_loadcnt_dscnt 0x0
	v_cmp_neq_f64_e32 vcc_lo, 0, v[10:11]
	v_cmp_neq_f64_e64 s3, 1.0, v[12:13]
	s_or_b32 s14, vcc_lo, s3
	s_wait_xcnt 0x0
	s_and_saveexec_b32 s3, s14
	s_cbranch_execz .LBB17_3
; %bb.10:                               ;   in Loop: Header=BB17_4 Depth=1
	s_and_b32 exec_lo, exec_lo, s1
	s_cbranch_execz .LBB17_3
; %bb.11:                               ;   in Loop: Header=BB17_4 Depth=1
	v_mov_b64_e32 v[14:15], 0
	s_mov_b32 s18, exec_lo
	v_cmpx_neq_f64_e32 0, v[10:11]
	s_cbranch_execz .LBB17_22
; %bb.12:                               ;   in Loop: Header=BB17_4 Depth=1
	v_mov_b64_e32 v[14:15], 0
	s_and_saveexec_b32 s19, s2
	s_cbranch_execz .LBB17_21
; %bb.13:                               ;   in Loop: Header=BB17_4 Depth=1
	v_mad_nc_u64_u32 v[16:17], s8, s4, v[6:7]
	v_mad_nc_u64_u32 v[18:19], s10, s4, v[8:9]
	v_mov_b64_e32 v[14:15], 0
	v_mov_b32_e32 v23, v0
	s_mov_b64 s[14:15], 0
	s_mov_b32 s20, 0
	s_delay_alu instid0(VALU_DEP_4) | instskip(NEXT) | instid1(VALU_DEP_4)
	v_mad_u32 v17, s9, s4, v17
	v_mad_u32 v19, s11, s4, v19
	s_branch .LBB17_15
.LBB17_14:                              ;   in Loop: Header=BB17_15 Depth=2
	s_wait_xcnt 0x0
	s_or_b32 exec_lo, exec_lo, s21
	s_add_nc_u64 s[14:15], s[14:15], s[6:7]
	s_delay_alu instid0(VALU_DEP_3) | instskip(SKIP_1) | instid1(VALU_DEP_4)
	v_add_nc_u64_e32 v[16:17], s[16:17], v[16:17]
	v_add3_u32 v24, v2, s14, 64
	v_add_nc_u64_e32 v[18:19], s[12:13], v[18:19]
	v_add_nc_u32_e32 v23, 64, v23
	s_delay_alu instid0(VALU_DEP_3) | instskip(SKIP_1) | instid1(SALU_CYCLE_1)
	v_cmp_gt_u32_e32 vcc_lo, 64, v24
	s_or_b32 s20, vcc_lo, s20
	s_and_not1_b32 exec_lo, exec_lo, s20
	s_cbranch_execz .LBB17_20
.LBB17_15:                              ;   Parent Loop BB17_4 Depth=1
                                        ; =>  This Inner Loop Header: Depth=2
	s_mov_b32 s21, exec_lo
	v_cmpx_gt_i32_e64 s30, v23
	s_cbranch_execz .LBB17_14
; %bb.16:                               ;   in Loop: Header=BB17_15 Depth=2
	global_load_b64 v[24:25], v[18:19], off
	global_load_b64 v[26:27], v[16:17], off
	s_wait_loadcnt 0x0
	v_fmac_f64_e32 v[14:15], v[24:25], v[26:27]
	s_branch .LBB17_14
.LBB17_17:                              ;   in Loop: Header=BB17_4 Depth=1
	ds_load_b64 v[10:11], v1
	s_wait_dscnt 0x0
	flat_load_b64 v[10:11], v[10:11]
	s_cbranch_execnz .LBB17_6
.LBB17_18:                              ;   in Loop: Header=BB17_4 Depth=1
	s_wait_loadcnt_dscnt 0x0
	s_wait_xcnt 0x0
	ds_load_b64 v[10:11], v1
	s_and_b32 vcc_lo, exec_lo, s22
	s_mov_b32 s3, -1
                                        ; implicit-def: $vgpr12_vgpr13
	s_cbranch_vccz .LBB17_7
.LBB17_19:                              ;   in Loop: Header=BB17_4 Depth=1
	ds_load_b64 v[12:13], v20
	s_wait_dscnt 0x0
	flat_load_b64 v[12:13], v[12:13]
	s_cbranch_execz .LBB17_8
	s_branch .LBB17_9
.LBB17_20:                              ;   in Loop: Header=BB17_4 Depth=1
	s_or_b32 exec_lo, exec_lo, s20
.LBB17_21:                              ;   in Loop: Header=BB17_4 Depth=1
	s_delay_alu instid0(SALU_CYCLE_1)
	s_or_b32 exec_lo, exec_lo, s19
	ds_bpermute_b32 v16, v22, v14
	ds_bpermute_b32 v17, v22, v15
	v_cmp_gt_u32_e32 vcc_lo, 24, v21
	s_wait_dscnt 0x0
	s_barrier_signal -1
	s_barrier_wait -1
	v_add_f64_e32 v[14:15], v[14:15], v[16:17]
	ds_bpermute_b32 v16, v3, v14
	ds_bpermute_b32 v17, v3, v15
	s_wait_dscnt 0x0
	v_add_f64_e32 v[14:15], v[14:15], v[16:17]
	v_cndmask_b32_e64 v16, 0, 8, vcc_lo
	v_cmp_gt_u32_e32 vcc_lo, 28, v21
	s_delay_alu instid0(VALU_DEP_2)
	v_add_lshl_u32 v17, v16, v21, 2
	ds_bpermute_b32 v16, v17, v14
	ds_bpermute_b32 v17, v17, v15
	s_wait_dscnt 0x0
	v_add_f64_e32 v[14:15], v[14:15], v[16:17]
	v_cndmask_b32_e64 v16, 0, 4, vcc_lo
	v_cmp_gt_u32_e32 vcc_lo, 30, v21
	s_delay_alu instid0(VALU_DEP_2)
	v_add_lshl_u32 v17, v16, v21, 2
	ds_bpermute_b32 v16, v17, v14
	ds_bpermute_b32 v17, v17, v15
	s_wait_dscnt 0x0
	v_add_f64_e32 v[14:15], v[14:15], v[16:17]
	v_cndmask_b32_e64 v16, 0, 2, vcc_lo
	v_cmp_ne_u32_e32 vcc_lo, 31, v21
	s_delay_alu instid0(VALU_DEP_2)
	v_add_lshl_u32 v17, v16, v21, 2
	ds_bpermute_b32 v16, v17, v14
	ds_bpermute_b32 v17, v17, v15
	s_wait_dscnt 0x0
	v_add_f64_e32 v[14:15], v[14:15], v[16:17]
	v_add_co_ci_u32_e64 v16, null, 0, v21, vcc_lo
	s_delay_alu instid0(VALU_DEP_1) | instskip(SKIP_4) | instid1(VALU_DEP_1)
	v_lshlrev_b32_e32 v17, 2, v16
	ds_bpermute_b32 v16, v17, v14
	ds_bpermute_b32 v17, v17, v15
	s_wait_dscnt 0x0
	v_add_f64_e32 v[14:15], v[14:15], v[16:17]
	v_mul_f64_e32 v[14:15], v[10:11], v[14:15]
.LBB17_22:                              ;   in Loop: Header=BB17_4 Depth=1
	s_or_b32 exec_lo, exec_lo, s18
	s_delay_alu instid0(SALU_CYCLE_1)
	s_and_b32 exec_lo, exec_lo, s0
	s_cbranch_execz .LBB17_3
; %bb.23:                               ;   in Loop: Header=BB17_4 Depth=1
	s_mul_u64 s[14:15], s[38:39], s[4:5]
	s_delay_alu instid0(SALU_CYCLE_1)
	v_lshl_add_u64 v[10:11], s[14:15], 3, v[4:5]
	s_mov_b32 s14, exec_lo
	v_cmpx_neq_f64_e32 0, v[12:13]
	s_cbranch_execz .LBB17_2
; %bb.24:                               ;   in Loop: Header=BB17_4 Depth=1
	global_load_b64 v[16:17], v[10:11], off
	s_wait_loadcnt 0x0
	v_fmac_f64_e32 v[14:15], v[12:13], v[16:17]
	s_branch .LBB17_2
.LBB17_25:
	s_endpgm
	.section	.rodata,"a",@progbits
	.p2align	6, 0x0
	.amdhsa_kernel _ZL20rocblas_gbmvn_kernelILi64ELi16E24rocblas_internal_val_ptrIdEPKdPdEvbiiiiT1_T2_lllS6_lllS5_T3_llli
		.amdhsa_group_segment_fixed_size 16384
		.amdhsa_private_segment_fixed_size 0
		.amdhsa_kernarg_size 140
		.amdhsa_user_sgpr_count 4
		.amdhsa_user_sgpr_dispatch_ptr 1
		.amdhsa_user_sgpr_queue_ptr 0
		.amdhsa_user_sgpr_kernarg_segment_ptr 1
		.amdhsa_user_sgpr_dispatch_id 0
		.amdhsa_user_sgpr_kernarg_preload_length 0
		.amdhsa_user_sgpr_kernarg_preload_offset 0
		.amdhsa_user_sgpr_private_segment_size 0
		.amdhsa_wavefront_size32 1
		.amdhsa_uses_dynamic_stack 0
		.amdhsa_enable_private_segment 0
		.amdhsa_system_sgpr_workgroup_id_x 1
		.amdhsa_system_sgpr_workgroup_id_y 0
		.amdhsa_system_sgpr_workgroup_id_z 1
		.amdhsa_system_sgpr_workgroup_info 0
		.amdhsa_system_vgpr_workitem_id 2
		.amdhsa_next_free_vgpr 28
		.amdhsa_next_free_sgpr 40
		.amdhsa_named_barrier_count 0
		.amdhsa_reserve_vcc 1
		.amdhsa_float_round_mode_32 0
		.amdhsa_float_round_mode_16_64 0
		.amdhsa_float_denorm_mode_32 3
		.amdhsa_float_denorm_mode_16_64 3
		.amdhsa_fp16_overflow 0
		.amdhsa_memory_ordered 1
		.amdhsa_forward_progress 1
		.amdhsa_inst_pref_size 10
		.amdhsa_round_robin_scheduling 0
		.amdhsa_exception_fp_ieee_invalid_op 0
		.amdhsa_exception_fp_denorm_src 0
		.amdhsa_exception_fp_ieee_div_zero 0
		.amdhsa_exception_fp_ieee_overflow 0
		.amdhsa_exception_fp_ieee_underflow 0
		.amdhsa_exception_fp_ieee_inexact 0
		.amdhsa_exception_int_div_zero 0
	.end_amdhsa_kernel
	.section	.text._ZL20rocblas_gbmvn_kernelILi64ELi16E24rocblas_internal_val_ptrIdEPKdPdEvbiiiiT1_T2_lllS6_lllS5_T3_llli,"axG",@progbits,_ZL20rocblas_gbmvn_kernelILi64ELi16E24rocblas_internal_val_ptrIdEPKdPdEvbiiiiT1_T2_lllS6_lllS5_T3_llli,comdat
.Lfunc_end17:
	.size	_ZL20rocblas_gbmvn_kernelILi64ELi16E24rocblas_internal_val_ptrIdEPKdPdEvbiiiiT1_T2_lllS6_lllS5_T3_llli, .Lfunc_end17-_ZL20rocblas_gbmvn_kernelILi64ELi16E24rocblas_internal_val_ptrIdEPKdPdEvbiiiiT1_T2_lllS6_lllS5_T3_llli
                                        ; -- End function
	.set _ZL20rocblas_gbmvn_kernelILi64ELi16E24rocblas_internal_val_ptrIdEPKdPdEvbiiiiT1_T2_lllS6_lllS5_T3_llli.num_vgpr, 28
	.set _ZL20rocblas_gbmvn_kernelILi64ELi16E24rocblas_internal_val_ptrIdEPKdPdEvbiiiiT1_T2_lllS6_lllS5_T3_llli.num_agpr, 0
	.set _ZL20rocblas_gbmvn_kernelILi64ELi16E24rocblas_internal_val_ptrIdEPKdPdEvbiiiiT1_T2_lllS6_lllS5_T3_llli.numbered_sgpr, 40
	.set _ZL20rocblas_gbmvn_kernelILi64ELi16E24rocblas_internal_val_ptrIdEPKdPdEvbiiiiT1_T2_lllS6_lllS5_T3_llli.num_named_barrier, 0
	.set _ZL20rocblas_gbmvn_kernelILi64ELi16E24rocblas_internal_val_ptrIdEPKdPdEvbiiiiT1_T2_lllS6_lllS5_T3_llli.private_seg_size, 0
	.set _ZL20rocblas_gbmvn_kernelILi64ELi16E24rocblas_internal_val_ptrIdEPKdPdEvbiiiiT1_T2_lllS6_lllS5_T3_llli.uses_vcc, 1
	.set _ZL20rocblas_gbmvn_kernelILi64ELi16E24rocblas_internal_val_ptrIdEPKdPdEvbiiiiT1_T2_lllS6_lllS5_T3_llli.uses_flat_scratch, 0
	.set _ZL20rocblas_gbmvn_kernelILi64ELi16E24rocblas_internal_val_ptrIdEPKdPdEvbiiiiT1_T2_lllS6_lllS5_T3_llli.has_dyn_sized_stack, 0
	.set _ZL20rocblas_gbmvn_kernelILi64ELi16E24rocblas_internal_val_ptrIdEPKdPdEvbiiiiT1_T2_lllS6_lllS5_T3_llli.has_recursion, 0
	.set _ZL20rocblas_gbmvn_kernelILi64ELi16E24rocblas_internal_val_ptrIdEPKdPdEvbiiiiT1_T2_lllS6_lllS5_T3_llli.has_indirect_call, 0
	.section	.AMDGPU.csdata,"",@progbits
; Kernel info:
; codeLenInByte = 1240
; TotalNumSgprs: 42
; NumVgprs: 28
; ScratchSize: 0
; MemoryBound: 1
; FloatMode: 240
; IeeeMode: 1
; LDSByteSize: 16384 bytes/workgroup (compile time only)
; SGPRBlocks: 0
; VGPRBlocks: 1
; NumSGPRsForWavesPerEU: 42
; NumVGPRsForWavesPerEU: 28
; NamedBarCnt: 0
; Occupancy: 16
; WaveLimiterHint : 0
; COMPUTE_PGM_RSRC2:SCRATCH_EN: 0
; COMPUTE_PGM_RSRC2:USER_SGPR: 4
; COMPUTE_PGM_RSRC2:TRAP_HANDLER: 0
; COMPUTE_PGM_RSRC2:TGID_X_EN: 1
; COMPUTE_PGM_RSRC2:TGID_Y_EN: 0
; COMPUTE_PGM_RSRC2:TGID_Z_EN: 1
; COMPUTE_PGM_RSRC2:TIDIG_COMP_CNT: 2
	.section	.text._ZL20rocblas_gbmvt_kernelILi32ELi32E24rocblas_internal_val_ptrIdEPKdPdEvb18rocblas_operation_iiiiT1_T2_lllS7_lllS6_T3_llli,"axG",@progbits,_ZL20rocblas_gbmvt_kernelILi32ELi32E24rocblas_internal_val_ptrIdEPKdPdEvb18rocblas_operation_iiiiT1_T2_lllS7_lllS6_T3_llli,comdat
	.globl	_ZL20rocblas_gbmvt_kernelILi32ELi32E24rocblas_internal_val_ptrIdEPKdPdEvb18rocblas_operation_iiiiT1_T2_lllS7_lllS6_T3_llli ; -- Begin function _ZL20rocblas_gbmvt_kernelILi32ELi32E24rocblas_internal_val_ptrIdEPKdPdEvb18rocblas_operation_iiiiT1_T2_lllS7_lllS6_T3_llli
	.p2align	8
	.type	_ZL20rocblas_gbmvt_kernelILi32ELi32E24rocblas_internal_val_ptrIdEPKdPdEvb18rocblas_operation_iiiiT1_T2_lllS7_lllS6_T3_llli,@function
_ZL20rocblas_gbmvt_kernelILi32ELi32E24rocblas_internal_val_ptrIdEPKdPdEvb18rocblas_operation_iiiiT1_T2_lllS7_lllS6_T3_llli: ; @_ZL20rocblas_gbmvt_kernelILi32ELi32E24rocblas_internal_val_ptrIdEPKdPdEvb18rocblas_operation_iiiiT1_T2_lllS7_lllS6_T3_llli
; %bb.0:
	s_load_b512 s[4:19], s[2:3], 0x18
	s_load_b64 s[28:29], s[0:1], 0x4
	s_load_b256 s[20:27], s[2:3], 0x58
	v_bfe_u32 v1, v0, 10, 10
	s_load_b32 s33, s[2:3], 0x88
	v_and_b32_e32 v20, 0x3ff, v0
	s_wait_xcnt 0x0
	s_lshr_b32 s1, ttmp7, 16
	v_bfe_u32 v0, v0, 20, 10
	s_wait_kmcnt 0x0
	v_dual_mov_b32 v2, s4 :: v_dual_mov_b32 v3, s5
	v_mul_u32_u24_e32 v5, s29, v1
	s_lshr_b32 s0, s28, 16
	s_bfe_u32 s5, ttmp6, 0x40008
	s_mul_i32 s0, s0, s29
	v_mov_b32_e32 v4, s22
	v_mad_u32 v6, s0, v20, v5
	s_bfe_u32 s0, ttmp6, 0x40014
	v_mov_b32_e32 v5, s23
	s_add_co_i32 s0, s0, 1
	s_delay_alu instid0(SALU_CYCLE_1) | instskip(SKIP_4) | instid1(VALU_DEP_2)
	s_mul_i32 s4, s1, s0
	s_getreg_b32 s0, hwreg(HW_REG_IB_STS2, 6, 4)
	s_add_co_i32 s5, s5, s4
	s_cmp_eq_u32 s0, 0
	s_cselect_b32 s4, s1, s5
	v_add_lshl_u32 v21, v6, v0, 3
	s_cmp_ge_u32 s4, s33
	s_mov_b32 s5, 0
	ds_store_2addr_stride64_b64 v21, v[4:5], v[2:3] offset1:16
	s_cbranch_scc1 .LBB18_27
; %bb.1:
	s_clause 0x2
	s_load_b32 s1, s[2:3], 0x0
	s_load_b128 s[28:31], s[2:3], 0x8
	s_load_b128 s[36:39], s[2:3], 0x78
	s_wait_xcnt 0x0
	v_cmp_eq_u32_e64 s2, 0, v20
	s_wait_kmcnt 0x0
	s_bitcmp1_b32 s1, 0
	v_sub_nc_u32_e32 v2, s31, v20
	s_cselect_b32 s1, -1, 0
	s_bfe_u32 s22, ttmp6, 0x4000c
	s_and_b32 s23, ttmp6, 15
	s_add_co_i32 s22, s22, 1
	s_lshl_b64 s[26:27], s[26:27], 3
	s_mul_i32 s34, ttmp9, s22
	s_xor_b32 s22, s1, -1
	s_add_co_i32 s23, s23, s34
	s_cmp_eq_u32 s0, 0
	v_ashrrev_i32_e32 v3, 31, v2
	s_cselect_b32 s0, ttmp9, s23
	s_add_co_i32 s23, s31, s30
	v_lshl_add_u32 v0, s0, 5, v1
	s_lshl_b64 s[0:1], s[8:9], 3
	s_add_nc_u64 s[8:9], s[24:25], s[26:27]
	s_delay_alu instid0(VALU_DEP_1) | instskip(NEXT) | instid1(VALU_DEP_1)
	v_ashrrev_i32_e32 v1, 31, v0
	v_mul_u64_e32 v[4:5], s[10:11], v[0:1]
	v_sub_nc_u64_e32 v[6:7], v[0:1], v[2:3]
	v_mul_u64_e32 v[8:9], s[36:37], v[0:1]
	v_mbcnt_lo_u32_b32 v3, -1, 0
	s_lshl_b64 s[10:11], s[16:17], 3
	v_add_nc_u32_e32 v1, 0x2000, v21
	s_delay_alu instid0(VALU_DEP_4)
	v_mul_u64_e32 v[10:11], s[18:19], v[6:7]
	v_dual_mov_b32 v7, 0 :: v_dual_lshlrev_b32 v6, 3, v20
	v_lshl_or_b32 v22, v3, 2, 64
	v_lshl_add_u64 v[4:5], v[4:5], 3, s[0:1]
	v_cmp_gt_i32_e64 s0, s29, v0
	v_cmp_ge_i32_e64 s1, s23, v20
	s_delay_alu instid0(VALU_DEP_3)
	v_add_nc_u64_e32 v[6:7], v[4:5], v[6:7]
	v_lshl_add_u64 v[4:5], v[8:9], 3, s[8:9]
	s_add_nc_u64 s[8:9], s[14:15], s[10:11]
	s_lshl_b64 s[10:11], s[18:19], 8
	v_lshl_add_u64 v[8:9], v[10:11], 3, s[8:9]
	s_lshl_b64 s[8:9], s[20:21], 3
	s_delay_alu instid0(VALU_DEP_3)
	v_add_nc_u64_e32 v[6:7], s[6:7], v[6:7]
	s_lshl_b64 s[6:7], s[12:13], 3
	s_branch .LBB18_4
.LBB18_2:                               ;   in Loop: Header=BB18_4 Depth=1
	s_wait_xcnt 0x0
	s_or_b32 exec_lo, exec_lo, s3
	global_store_b64 v[10:11], v[14:15], off
.LBB18_3:                               ;   in Loop: Header=BB18_4 Depth=1
	s_wait_xcnt 0x0
	s_or_b32 exec_lo, exec_lo, s12
	s_add_co_i32 s4, s4, 0x10000
	s_delay_alu instid0(SALU_CYCLE_1)
	s_cmp_lt_u32 s4, s33
	s_cbranch_scc0 .LBB18_27
.LBB18_4:                               ; =>This Loop Header: Depth=1
                                        ;     Child Loop BB18_16 Depth 2
	s_and_b32 vcc_lo, exec_lo, s22
	s_mov_b32 s3, -1
                                        ; implicit-def: $vgpr10_vgpr11
	s_cbranch_vccnz .LBB18_19
; %bb.5:                                ;   in Loop: Header=BB18_4 Depth=1
	s_and_not1_b32 vcc_lo, exec_lo, s3
	s_cbranch_vccz .LBB18_20
.LBB18_6:                               ;   in Loop: Header=BB18_4 Depth=1
	s_and_b32 vcc_lo, exec_lo, s22
	s_mov_b32 s3, -1
                                        ; implicit-def: $vgpr12_vgpr13
	s_cbranch_vccnz .LBB18_21
.LBB18_7:                               ;   in Loop: Header=BB18_4 Depth=1
	s_and_not1_b32 vcc_lo, exec_lo, s3
	s_cbranch_vccnz .LBB18_9
.LBB18_8:                               ;   in Loop: Header=BB18_4 Depth=1
	s_wait_loadcnt_dscnt 0x0
	s_wait_xcnt 0x0
	ds_load_b64 v[12:13], v21
.LBB18_9:                               ;   in Loop: Header=BB18_4 Depth=1
	s_wait_loadcnt_dscnt 0x0
	v_cmp_neq_f64_e32 vcc_lo, 0, v[10:11]
	v_cmp_neq_f64_e64 s3, 1.0, v[12:13]
	s_or_b32 s3, vcc_lo, s3
	s_wait_xcnt 0x0
	s_and_saveexec_b32 s12, s3
	s_cbranch_execz .LBB18_3
; %bb.10:                               ;   in Loop: Header=BB18_4 Depth=1
	s_and_b32 exec_lo, exec_lo, s0
	s_cbranch_execz .LBB18_3
; %bb.11:                               ;   in Loop: Header=BB18_4 Depth=1
	v_mov_b64_e32 v[14:15], 0
	s_mov_b32 s13, exec_lo
	v_cmpx_neq_f64_e32 0, v[10:11]
	s_cbranch_execz .LBB18_24
; %bb.12:                               ;   in Loop: Header=BB18_4 Depth=1
	v_mov_b64_e32 v[14:15], 0
	s_and_saveexec_b32 s14, s1
	s_cbranch_execz .LBB18_23
; %bb.13:                               ;   in Loop: Header=BB18_4 Depth=1
	v_mad_nc_u64_u32 v[16:17], s6, s4, v[6:7]
	v_mad_nc_u64_u32 v[18:19], s8, s4, v[8:9]
	v_mov_b64_e32 v[14:15], 0
	v_dual_mov_b32 v23, v2 :: v_dual_mov_b32 v24, v20
	s_mov_b32 s15, 0
	s_delay_alu instid0(VALU_DEP_4) | instskip(NEXT) | instid1(VALU_DEP_4)
	v_mad_u32 v17, s7, s4, v17
	v_mad_u32 v19, s9, s4, v19
	s_branch .LBB18_16
.LBB18_14:                              ;   in Loop: Header=BB18_16 Depth=2
	s_wait_xcnt 0x0
	s_or_b32 exec_lo, exec_lo, s3
.LBB18_15:                              ;   in Loop: Header=BB18_16 Depth=2
	s_delay_alu instid0(SALU_CYCLE_1) | instskip(SKIP_4) | instid1(VALU_DEP_4)
	s_or_b32 exec_lo, exec_lo, s16
	v_add_nc_u32_e32 v24, 32, v24
	v_add_nc_u64_e32 v[16:17], 0x100, v[16:17]
	v_add_nc_u64_e32 v[18:19], s[10:11], v[18:19]
	v_subrev_nc_u32_e32 v23, 32, v23
	v_cmp_lt_i32_e32 vcc_lo, s23, v24
	s_or_b32 s15, vcc_lo, s15
	s_delay_alu instid0(SALU_CYCLE_1)
	s_and_not1_b32 exec_lo, exec_lo, s15
	s_cbranch_execz .LBB18_22
.LBB18_16:                              ;   Parent Loop BB18_4 Depth=1
                                        ; =>  This Inner Loop Header: Depth=2
	v_add_nc_u32_e32 v25, s28, v23
	s_mov_b32 s16, exec_lo
	s_delay_alu instid0(VALU_DEP_1)
	v_cmpx_lt_i32_e64 v0, v25
	s_cbranch_execz .LBB18_15
; %bb.17:                               ;   in Loop: Header=BB18_16 Depth=2
	v_cmp_lt_i32_e32 vcc_lo, s31, v24
	v_cmp_ge_i32_e64 s3, v0, v23
	s_or_b32 s17, vcc_lo, s3
	s_delay_alu instid0(SALU_CYCLE_1)
	s_and_saveexec_b32 s3, s17
	s_cbranch_execz .LBB18_14
; %bb.18:                               ;   in Loop: Header=BB18_16 Depth=2
	global_load_b64 v[26:27], v[16:17], off
	global_load_b64 v[28:29], v[18:19], off
	s_wait_loadcnt 0x0
	v_fmac_f64_e32 v[14:15], v[26:27], v[28:29]
	s_branch .LBB18_14
.LBB18_19:                              ;   in Loop: Header=BB18_4 Depth=1
	ds_load_b64 v[10:11], v1
	s_wait_dscnt 0x0
	flat_load_b64 v[10:11], v[10:11]
	s_cbranch_execnz .LBB18_6
.LBB18_20:                              ;   in Loop: Header=BB18_4 Depth=1
	s_wait_loadcnt_dscnt 0x0
	s_wait_xcnt 0x0
	ds_load_b64 v[10:11], v1
	s_and_b32 vcc_lo, exec_lo, s22
	s_mov_b32 s3, -1
                                        ; implicit-def: $vgpr12_vgpr13
	s_cbranch_vccz .LBB18_7
.LBB18_21:                              ;   in Loop: Header=BB18_4 Depth=1
	ds_load_b64 v[12:13], v21
	s_wait_dscnt 0x0
	flat_load_b64 v[12:13], v[12:13]
	s_cbranch_execz .LBB18_8
	s_branch .LBB18_9
.LBB18_22:                              ;   in Loop: Header=BB18_4 Depth=1
	s_or_b32 exec_lo, exec_lo, s15
.LBB18_23:                              ;   in Loop: Header=BB18_4 Depth=1
	s_delay_alu instid0(SALU_CYCLE_1)
	s_or_b32 exec_lo, exec_lo, s14
	ds_bpermute_b32 v16, v22, v14
	ds_bpermute_b32 v17, v22, v15
	v_cmp_gt_u32_e32 vcc_lo, 24, v3
	s_wait_dscnt 0x0
	s_barrier_signal -1
	s_barrier_wait -1
	v_add_f64_e32 v[14:15], v[14:15], v[16:17]
	v_cndmask_b32_e64 v16, 0, 8, vcc_lo
	v_cmp_gt_u32_e32 vcc_lo, 28, v3
	s_delay_alu instid0(VALU_DEP_2)
	v_add_lshl_u32 v17, v16, v3, 2
	ds_bpermute_b32 v16, v17, v14
	ds_bpermute_b32 v17, v17, v15
	s_wait_dscnt 0x0
	v_add_f64_e32 v[14:15], v[14:15], v[16:17]
	v_cndmask_b32_e64 v16, 0, 4, vcc_lo
	v_cmp_gt_u32_e32 vcc_lo, 30, v3
	s_delay_alu instid0(VALU_DEP_2)
	v_add_lshl_u32 v17, v16, v3, 2
	ds_bpermute_b32 v16, v17, v14
	ds_bpermute_b32 v17, v17, v15
	s_wait_dscnt 0x0
	v_add_f64_e32 v[14:15], v[14:15], v[16:17]
	v_cndmask_b32_e64 v16, 0, 2, vcc_lo
	v_cmp_ne_u32_e32 vcc_lo, 31, v3
	s_delay_alu instid0(VALU_DEP_2)
	v_add_lshl_u32 v17, v16, v3, 2
	ds_bpermute_b32 v16, v17, v14
	ds_bpermute_b32 v17, v17, v15
	s_wait_dscnt 0x0
	v_add_f64_e32 v[14:15], v[14:15], v[16:17]
	v_add_co_ci_u32_e64 v16, null, 0, v3, vcc_lo
	s_delay_alu instid0(VALU_DEP_1) | instskip(SKIP_4) | instid1(VALU_DEP_1)
	v_lshlrev_b32_e32 v17, 2, v16
	ds_bpermute_b32 v16, v17, v14
	ds_bpermute_b32 v17, v17, v15
	s_wait_dscnt 0x0
	v_add_f64_e32 v[14:15], v[14:15], v[16:17]
	v_mul_f64_e32 v[14:15], v[10:11], v[14:15]
.LBB18_24:                              ;   in Loop: Header=BB18_4 Depth=1
	s_or_b32 exec_lo, exec_lo, s13
	s_delay_alu instid0(SALU_CYCLE_1)
	s_and_b32 exec_lo, exec_lo, s2
	s_cbranch_execz .LBB18_3
; %bb.25:                               ;   in Loop: Header=BB18_4 Depth=1
	s_mul_u64 s[14:15], s[38:39], s[4:5]
	s_mov_b32 s3, exec_lo
	v_lshl_add_u64 v[10:11], s[14:15], 3, v[4:5]
	v_cmpx_neq_f64_e32 0, v[12:13]
	s_cbranch_execz .LBB18_2
; %bb.26:                               ;   in Loop: Header=BB18_4 Depth=1
	global_load_b64 v[16:17], v[10:11], off
	s_wait_loadcnt 0x0
	v_fmac_f64_e32 v[14:15], v[12:13], v[16:17]
	s_branch .LBB18_2
.LBB18_27:
	s_endpgm
	.section	.rodata,"a",@progbits
	.p2align	6, 0x0
	.amdhsa_kernel _ZL20rocblas_gbmvt_kernelILi32ELi32E24rocblas_internal_val_ptrIdEPKdPdEvb18rocblas_operation_iiiiT1_T2_lllS7_lllS6_T3_llli
		.amdhsa_group_segment_fixed_size 16384
		.amdhsa_private_segment_fixed_size 0
		.amdhsa_kernarg_size 140
		.amdhsa_user_sgpr_count 4
		.amdhsa_user_sgpr_dispatch_ptr 1
		.amdhsa_user_sgpr_queue_ptr 0
		.amdhsa_user_sgpr_kernarg_segment_ptr 1
		.amdhsa_user_sgpr_dispatch_id 0
		.amdhsa_user_sgpr_kernarg_preload_length 0
		.amdhsa_user_sgpr_kernarg_preload_offset 0
		.amdhsa_user_sgpr_private_segment_size 0
		.amdhsa_wavefront_size32 1
		.amdhsa_uses_dynamic_stack 0
		.amdhsa_enable_private_segment 0
		.amdhsa_system_sgpr_workgroup_id_x 1
		.amdhsa_system_sgpr_workgroup_id_y 0
		.amdhsa_system_sgpr_workgroup_id_z 1
		.amdhsa_system_sgpr_workgroup_info 0
		.amdhsa_system_vgpr_workitem_id 2
		.amdhsa_next_free_vgpr 30
		.amdhsa_next_free_sgpr 40
		.amdhsa_named_barrier_count 0
		.amdhsa_reserve_vcc 1
		.amdhsa_float_round_mode_32 0
		.amdhsa_float_round_mode_16_64 0
		.amdhsa_float_denorm_mode_32 3
		.amdhsa_float_denorm_mode_16_64 3
		.amdhsa_fp16_overflow 0
		.amdhsa_memory_ordered 1
		.amdhsa_forward_progress 1
		.amdhsa_inst_pref_size 10
		.amdhsa_round_robin_scheduling 0
		.amdhsa_exception_fp_ieee_invalid_op 0
		.amdhsa_exception_fp_denorm_src 0
		.amdhsa_exception_fp_ieee_div_zero 0
		.amdhsa_exception_fp_ieee_overflow 0
		.amdhsa_exception_fp_ieee_underflow 0
		.amdhsa_exception_fp_ieee_inexact 0
		.amdhsa_exception_int_div_zero 0
	.end_amdhsa_kernel
	.section	.text._ZL20rocblas_gbmvt_kernelILi32ELi32E24rocblas_internal_val_ptrIdEPKdPdEvb18rocblas_operation_iiiiT1_T2_lllS7_lllS6_T3_llli,"axG",@progbits,_ZL20rocblas_gbmvt_kernelILi32ELi32E24rocblas_internal_val_ptrIdEPKdPdEvb18rocblas_operation_iiiiT1_T2_lllS7_lllS6_T3_llli,comdat
.Lfunc_end18:
	.size	_ZL20rocblas_gbmvt_kernelILi32ELi32E24rocblas_internal_val_ptrIdEPKdPdEvb18rocblas_operation_iiiiT1_T2_lllS7_lllS6_T3_llli, .Lfunc_end18-_ZL20rocblas_gbmvt_kernelILi32ELi32E24rocblas_internal_val_ptrIdEPKdPdEvb18rocblas_operation_iiiiT1_T2_lllS7_lllS6_T3_llli
                                        ; -- End function
	.set _ZL20rocblas_gbmvt_kernelILi32ELi32E24rocblas_internal_val_ptrIdEPKdPdEvb18rocblas_operation_iiiiT1_T2_lllS7_lllS6_T3_llli.num_vgpr, 30
	.set _ZL20rocblas_gbmvt_kernelILi32ELi32E24rocblas_internal_val_ptrIdEPKdPdEvb18rocblas_operation_iiiiT1_T2_lllS7_lllS6_T3_llli.num_agpr, 0
	.set _ZL20rocblas_gbmvt_kernelILi32ELi32E24rocblas_internal_val_ptrIdEPKdPdEvb18rocblas_operation_iiiiT1_T2_lllS7_lllS6_T3_llli.numbered_sgpr, 40
	.set _ZL20rocblas_gbmvt_kernelILi32ELi32E24rocblas_internal_val_ptrIdEPKdPdEvb18rocblas_operation_iiiiT1_T2_lllS7_lllS6_T3_llli.num_named_barrier, 0
	.set _ZL20rocblas_gbmvt_kernelILi32ELi32E24rocblas_internal_val_ptrIdEPKdPdEvb18rocblas_operation_iiiiT1_T2_lllS7_lllS6_T3_llli.private_seg_size, 0
	.set _ZL20rocblas_gbmvt_kernelILi32ELi32E24rocblas_internal_val_ptrIdEPKdPdEvb18rocblas_operation_iiiiT1_T2_lllS7_lllS6_T3_llli.uses_vcc, 1
	.set _ZL20rocblas_gbmvt_kernelILi32ELi32E24rocblas_internal_val_ptrIdEPKdPdEvb18rocblas_operation_iiiiT1_T2_lllS7_lllS6_T3_llli.uses_flat_scratch, 0
	.set _ZL20rocblas_gbmvt_kernelILi32ELi32E24rocblas_internal_val_ptrIdEPKdPdEvb18rocblas_operation_iiiiT1_T2_lllS7_lllS6_T3_llli.has_dyn_sized_stack, 0
	.set _ZL20rocblas_gbmvt_kernelILi32ELi32E24rocblas_internal_val_ptrIdEPKdPdEvb18rocblas_operation_iiiiT1_T2_lllS7_lllS6_T3_llli.has_recursion, 0
	.set _ZL20rocblas_gbmvt_kernelILi32ELi32E24rocblas_internal_val_ptrIdEPKdPdEvb18rocblas_operation_iiiiT1_T2_lllS7_lllS6_T3_llli.has_indirect_call, 0
	.section	.AMDGPU.csdata,"",@progbits
; Kernel info:
; codeLenInByte = 1200
; TotalNumSgprs: 42
; NumVgprs: 30
; ScratchSize: 0
; MemoryBound: 1
; FloatMode: 240
; IeeeMode: 1
; LDSByteSize: 16384 bytes/workgroup (compile time only)
; SGPRBlocks: 0
; VGPRBlocks: 1
; NumSGPRsForWavesPerEU: 42
; NumVGPRsForWavesPerEU: 30
; NamedBarCnt: 0
; Occupancy: 16
; WaveLimiterHint : 0
; COMPUTE_PGM_RSRC2:SCRATCH_EN: 0
; COMPUTE_PGM_RSRC2:USER_SGPR: 4
; COMPUTE_PGM_RSRC2:TRAP_HANDLER: 0
; COMPUTE_PGM_RSRC2:TGID_X_EN: 1
; COMPUTE_PGM_RSRC2:TGID_Y_EN: 0
; COMPUTE_PGM_RSRC2:TGID_Z_EN: 1
; COMPUTE_PGM_RSRC2:TIDIG_COMP_CNT: 2
	.section	.text._ZL20rocblas_gbmvt_kernelILi64ELi16E24rocblas_internal_val_ptrIdEPKdPdEvb18rocblas_operation_iiiiT1_T2_lllS7_lllS6_T3_llli,"axG",@progbits,_ZL20rocblas_gbmvt_kernelILi64ELi16E24rocblas_internal_val_ptrIdEPKdPdEvb18rocblas_operation_iiiiT1_T2_lllS7_lllS6_T3_llli,comdat
	.globl	_ZL20rocblas_gbmvt_kernelILi64ELi16E24rocblas_internal_val_ptrIdEPKdPdEvb18rocblas_operation_iiiiT1_T2_lllS7_lllS6_T3_llli ; -- Begin function _ZL20rocblas_gbmvt_kernelILi64ELi16E24rocblas_internal_val_ptrIdEPKdPdEvb18rocblas_operation_iiiiT1_T2_lllS7_lllS6_T3_llli
	.p2align	8
	.type	_ZL20rocblas_gbmvt_kernelILi64ELi16E24rocblas_internal_val_ptrIdEPKdPdEvb18rocblas_operation_iiiiT1_T2_lllS7_lllS6_T3_llli,@function
_ZL20rocblas_gbmvt_kernelILi64ELi16E24rocblas_internal_val_ptrIdEPKdPdEvb18rocblas_operation_iiiiT1_T2_lllS7_lllS6_T3_llli: ; @_ZL20rocblas_gbmvt_kernelILi64ELi16E24rocblas_internal_val_ptrIdEPKdPdEvb18rocblas_operation_iiiiT1_T2_lllS7_lllS6_T3_llli
; %bb.0:
	s_load_b512 s[4:19], s[2:3], 0x18
	s_load_b64 s[28:29], s[0:1], 0x4
	s_load_b256 s[20:27], s[2:3], 0x58
	v_bfe_u32 v1, v0, 10, 10
	s_load_b32 s33, s[2:3], 0x88
	v_and_b32_e32 v20, 0x3ff, v0
	s_wait_xcnt 0x0
	s_lshr_b32 s1, ttmp7, 16
	v_bfe_u32 v0, v0, 20, 10
	s_wait_kmcnt 0x0
	v_dual_mov_b32 v2, s4 :: v_dual_mov_b32 v3, s5
	v_mul_u32_u24_e32 v5, s29, v1
	s_lshr_b32 s0, s28, 16
	s_bfe_u32 s5, ttmp6, 0x40008
	s_mul_i32 s0, s0, s29
	v_mov_b32_e32 v4, s22
	v_mad_u32 v6, s0, v20, v5
	s_bfe_u32 s0, ttmp6, 0x40014
	v_mov_b32_e32 v5, s23
	s_add_co_i32 s0, s0, 1
	s_delay_alu instid0(SALU_CYCLE_1) | instskip(SKIP_4) | instid1(VALU_DEP_2)
	s_mul_i32 s4, s1, s0
	s_getreg_b32 s0, hwreg(HW_REG_IB_STS2, 6, 4)
	s_add_co_i32 s5, s5, s4
	s_cmp_eq_u32 s0, 0
	s_cselect_b32 s4, s1, s5
	v_add_lshl_u32 v21, v6, v0, 3
	s_cmp_ge_u32 s4, s33
	s_mov_b32 s5, 0
	ds_store_2addr_stride64_b64 v21, v[4:5], v[2:3] offset1:16
	s_cbranch_scc1 .LBB19_27
; %bb.1:
	s_clause 0x2
	s_load_b32 s1, s[2:3], 0x0
	s_load_b128 s[28:31], s[2:3], 0x8
	s_load_b128 s[36:39], s[2:3], 0x78
	s_wait_xcnt 0x0
	v_cmp_eq_u32_e64 s2, 0, v20
	s_wait_kmcnt 0x0
	s_bitcmp1_b32 s1, 0
	v_sub_nc_u32_e32 v2, s31, v20
	s_cselect_b32 s1, -1, 0
	s_bfe_u32 s22, ttmp6, 0x4000c
	s_and_b32 s23, ttmp6, 15
	s_add_co_i32 s22, s22, 1
	s_lshl_b64 s[26:27], s[26:27], 3
	s_mul_i32 s34, ttmp9, s22
	s_xor_b32 s22, s1, -1
	s_add_co_i32 s23, s23, s34
	s_cmp_eq_u32 s0, 0
	v_ashrrev_i32_e32 v3, 31, v2
	s_cselect_b32 s0, ttmp9, s23
	s_add_co_i32 s23, s31, s30
	v_lshl_add_u32 v0, s0, 4, v1
	s_lshl_b64 s[0:1], s[8:9], 3
	s_add_nc_u64 s[8:9], s[24:25], s[26:27]
	s_delay_alu instid0(VALU_DEP_1) | instskip(NEXT) | instid1(VALU_DEP_1)
	v_ashrrev_i32_e32 v1, 31, v0
	v_mul_u64_e32 v[4:5], s[10:11], v[0:1]
	v_sub_nc_u64_e32 v[6:7], v[0:1], v[2:3]
	v_mul_u64_e32 v[8:9], s[36:37], v[0:1]
	v_mbcnt_lo_u32_b32 v3, -1, 0
	s_lshl_b64 s[10:11], s[16:17], 3
	v_add_nc_u32_e32 v1, 0x2000, v21
	s_delay_alu instid0(VALU_DEP_4) | instskip(SKIP_2) | instid1(VALU_DEP_1)
	v_mul_u64_e32 v[10:11], s[18:19], v[6:7]
	v_dual_mov_b32 v7, 0 :: v_dual_lshlrev_b32 v6, 3, v20
	v_lshlrev_b32_e32 v22, 2, v3
	v_or_b32_e32 v23, 64, v22
	v_lshl_add_u64 v[4:5], v[4:5], 3, s[0:1]
	v_cmp_gt_i32_e64 s0, s29, v0
	v_cmp_ge_i32_e64 s1, s23, v20
	s_delay_alu instid0(VALU_DEP_3)
	v_add_nc_u64_e32 v[6:7], v[4:5], v[6:7]
	v_lshl_add_u64 v[4:5], v[8:9], 3, s[8:9]
	s_add_nc_u64 s[8:9], s[14:15], s[10:11]
	s_lshl_b64 s[10:11], s[18:19], 9
	v_lshl_add_u64 v[8:9], v[10:11], 3, s[8:9]
	s_lshl_b64 s[8:9], s[20:21], 3
	s_delay_alu instid0(VALU_DEP_3)
	v_add_nc_u64_e32 v[6:7], s[6:7], v[6:7]
	s_lshl_b64 s[6:7], s[12:13], 3
	s_branch .LBB19_4
.LBB19_2:                               ;   in Loop: Header=BB19_4 Depth=1
	s_wait_xcnt 0x0
	s_or_b32 exec_lo, exec_lo, s3
	global_store_b64 v[10:11], v[14:15], off
.LBB19_3:                               ;   in Loop: Header=BB19_4 Depth=1
	s_wait_xcnt 0x0
	s_or_b32 exec_lo, exec_lo, s12
	s_add_co_i32 s4, s4, 0x10000
	s_delay_alu instid0(SALU_CYCLE_1)
	s_cmp_lt_u32 s4, s33
	s_cbranch_scc0 .LBB19_27
.LBB19_4:                               ; =>This Loop Header: Depth=1
                                        ;     Child Loop BB19_16 Depth 2
	s_and_b32 vcc_lo, exec_lo, s22
	s_mov_b32 s3, -1
                                        ; implicit-def: $vgpr10_vgpr11
	s_cbranch_vccnz .LBB19_19
; %bb.5:                                ;   in Loop: Header=BB19_4 Depth=1
	s_and_not1_b32 vcc_lo, exec_lo, s3
	s_cbranch_vccz .LBB19_20
.LBB19_6:                               ;   in Loop: Header=BB19_4 Depth=1
	s_and_b32 vcc_lo, exec_lo, s22
	s_mov_b32 s3, -1
                                        ; implicit-def: $vgpr12_vgpr13
	s_cbranch_vccnz .LBB19_21
.LBB19_7:                               ;   in Loop: Header=BB19_4 Depth=1
	s_and_not1_b32 vcc_lo, exec_lo, s3
	s_cbranch_vccnz .LBB19_9
.LBB19_8:                               ;   in Loop: Header=BB19_4 Depth=1
	s_wait_loadcnt_dscnt 0x0
	s_wait_xcnt 0x0
	ds_load_b64 v[12:13], v21
.LBB19_9:                               ;   in Loop: Header=BB19_4 Depth=1
	s_wait_loadcnt_dscnt 0x0
	v_cmp_neq_f64_e32 vcc_lo, 0, v[10:11]
	v_cmp_neq_f64_e64 s3, 1.0, v[12:13]
	s_or_b32 s3, vcc_lo, s3
	s_wait_xcnt 0x0
	s_and_saveexec_b32 s12, s3
	s_cbranch_execz .LBB19_3
; %bb.10:                               ;   in Loop: Header=BB19_4 Depth=1
	s_and_b32 exec_lo, exec_lo, s0
	s_cbranch_execz .LBB19_3
; %bb.11:                               ;   in Loop: Header=BB19_4 Depth=1
	v_mov_b64_e32 v[14:15], 0
	s_mov_b32 s13, exec_lo
	v_cmpx_neq_f64_e32 0, v[10:11]
	s_cbranch_execz .LBB19_24
; %bb.12:                               ;   in Loop: Header=BB19_4 Depth=1
	v_mov_b64_e32 v[14:15], 0
	s_and_saveexec_b32 s14, s1
	s_cbranch_execz .LBB19_23
; %bb.13:                               ;   in Loop: Header=BB19_4 Depth=1
	v_mad_nc_u64_u32 v[16:17], s6, s4, v[6:7]
	v_mad_nc_u64_u32 v[18:19], s8, s4, v[8:9]
	v_mov_b64_e32 v[14:15], 0
	v_dual_mov_b32 v24, v2 :: v_dual_mov_b32 v25, v20
	s_mov_b32 s15, 0
	s_delay_alu instid0(VALU_DEP_4) | instskip(NEXT) | instid1(VALU_DEP_4)
	v_mad_u32 v17, s7, s4, v17
	v_mad_u32 v19, s9, s4, v19
	s_branch .LBB19_16
.LBB19_14:                              ;   in Loop: Header=BB19_16 Depth=2
	s_wait_xcnt 0x0
	s_or_b32 exec_lo, exec_lo, s3
.LBB19_15:                              ;   in Loop: Header=BB19_16 Depth=2
	s_delay_alu instid0(SALU_CYCLE_1) | instskip(SKIP_4) | instid1(VALU_DEP_4)
	s_or_b32 exec_lo, exec_lo, s16
	v_add_nc_u32_e32 v25, 64, v25
	v_add_nc_u64_e32 v[16:17], 0x200, v[16:17]
	v_add_nc_u64_e32 v[18:19], s[10:11], v[18:19]
	v_subrev_nc_u32_e32 v24, 64, v24
	v_cmp_lt_i32_e32 vcc_lo, s23, v25
	s_or_b32 s15, vcc_lo, s15
	s_delay_alu instid0(SALU_CYCLE_1)
	s_and_not1_b32 exec_lo, exec_lo, s15
	s_cbranch_execz .LBB19_22
.LBB19_16:                              ;   Parent Loop BB19_4 Depth=1
                                        ; =>  This Inner Loop Header: Depth=2
	v_add_nc_u32_e32 v26, s28, v24
	s_mov_b32 s16, exec_lo
	s_delay_alu instid0(VALU_DEP_1)
	v_cmpx_lt_i32_e64 v0, v26
	s_cbranch_execz .LBB19_15
; %bb.17:                               ;   in Loop: Header=BB19_16 Depth=2
	v_cmp_lt_i32_e32 vcc_lo, s31, v25
	v_cmp_ge_i32_e64 s3, v0, v24
	s_or_b32 s17, vcc_lo, s3
	s_delay_alu instid0(SALU_CYCLE_1)
	s_and_saveexec_b32 s3, s17
	s_cbranch_execz .LBB19_14
; %bb.18:                               ;   in Loop: Header=BB19_16 Depth=2
	global_load_b64 v[26:27], v[16:17], off
	global_load_b64 v[28:29], v[18:19], off
	s_wait_loadcnt 0x0
	v_fmac_f64_e32 v[14:15], v[26:27], v[28:29]
	s_branch .LBB19_14
.LBB19_19:                              ;   in Loop: Header=BB19_4 Depth=1
	ds_load_b64 v[10:11], v1
	s_wait_dscnt 0x0
	flat_load_b64 v[10:11], v[10:11]
	s_cbranch_execnz .LBB19_6
.LBB19_20:                              ;   in Loop: Header=BB19_4 Depth=1
	s_wait_loadcnt_dscnt 0x0
	s_wait_xcnt 0x0
	ds_load_b64 v[10:11], v1
	s_and_b32 vcc_lo, exec_lo, s22
	s_mov_b32 s3, -1
                                        ; implicit-def: $vgpr12_vgpr13
	s_cbranch_vccz .LBB19_7
.LBB19_21:                              ;   in Loop: Header=BB19_4 Depth=1
	ds_load_b64 v[12:13], v21
	s_wait_dscnt 0x0
	flat_load_b64 v[12:13], v[12:13]
	s_cbranch_execz .LBB19_8
	s_branch .LBB19_9
.LBB19_22:                              ;   in Loop: Header=BB19_4 Depth=1
	s_or_b32 exec_lo, exec_lo, s15
.LBB19_23:                              ;   in Loop: Header=BB19_4 Depth=1
	s_delay_alu instid0(SALU_CYCLE_1)
	s_or_b32 exec_lo, exec_lo, s14
	ds_bpermute_b32 v16, v22, v14
	ds_bpermute_b32 v17, v22, v15
	v_cmp_gt_u32_e32 vcc_lo, 24, v3
	s_wait_dscnt 0x0
	s_barrier_signal -1
	s_barrier_wait -1
	v_add_f64_e32 v[14:15], v[14:15], v[16:17]
	ds_bpermute_b32 v16, v23, v14
	ds_bpermute_b32 v17, v23, v15
	s_wait_dscnt 0x0
	v_add_f64_e32 v[14:15], v[14:15], v[16:17]
	v_cndmask_b32_e64 v16, 0, 8, vcc_lo
	v_cmp_gt_u32_e32 vcc_lo, 28, v3
	s_delay_alu instid0(VALU_DEP_2)
	v_add_lshl_u32 v17, v16, v3, 2
	ds_bpermute_b32 v16, v17, v14
	ds_bpermute_b32 v17, v17, v15
	s_wait_dscnt 0x0
	v_add_f64_e32 v[14:15], v[14:15], v[16:17]
	v_cndmask_b32_e64 v16, 0, 4, vcc_lo
	v_cmp_gt_u32_e32 vcc_lo, 30, v3
	s_delay_alu instid0(VALU_DEP_2)
	v_add_lshl_u32 v17, v16, v3, 2
	ds_bpermute_b32 v16, v17, v14
	ds_bpermute_b32 v17, v17, v15
	s_wait_dscnt 0x0
	v_add_f64_e32 v[14:15], v[14:15], v[16:17]
	v_cndmask_b32_e64 v16, 0, 2, vcc_lo
	v_cmp_ne_u32_e32 vcc_lo, 31, v3
	s_delay_alu instid0(VALU_DEP_2)
	v_add_lshl_u32 v17, v16, v3, 2
	ds_bpermute_b32 v16, v17, v14
	ds_bpermute_b32 v17, v17, v15
	s_wait_dscnt 0x0
	v_add_f64_e32 v[14:15], v[14:15], v[16:17]
	v_add_co_ci_u32_e64 v16, null, 0, v3, vcc_lo
	s_delay_alu instid0(VALU_DEP_1) | instskip(SKIP_4) | instid1(VALU_DEP_1)
	v_lshlrev_b32_e32 v17, 2, v16
	ds_bpermute_b32 v16, v17, v14
	ds_bpermute_b32 v17, v17, v15
	s_wait_dscnt 0x0
	v_add_f64_e32 v[14:15], v[14:15], v[16:17]
	v_mul_f64_e32 v[14:15], v[10:11], v[14:15]
.LBB19_24:                              ;   in Loop: Header=BB19_4 Depth=1
	s_or_b32 exec_lo, exec_lo, s13
	s_delay_alu instid0(SALU_CYCLE_1)
	s_and_b32 exec_lo, exec_lo, s2
	s_cbranch_execz .LBB19_3
; %bb.25:                               ;   in Loop: Header=BB19_4 Depth=1
	s_mul_u64 s[14:15], s[38:39], s[4:5]
	s_mov_b32 s3, exec_lo
	v_lshl_add_u64 v[10:11], s[14:15], 3, v[4:5]
	v_cmpx_neq_f64_e32 0, v[12:13]
	s_cbranch_execz .LBB19_2
; %bb.26:                               ;   in Loop: Header=BB19_4 Depth=1
	global_load_b64 v[16:17], v[10:11], off
	s_wait_loadcnt 0x0
	v_fmac_f64_e32 v[14:15], v[12:13], v[16:17]
	s_branch .LBB19_2
.LBB19_27:
	s_endpgm
	.section	.rodata,"a",@progbits
	.p2align	6, 0x0
	.amdhsa_kernel _ZL20rocblas_gbmvt_kernelILi64ELi16E24rocblas_internal_val_ptrIdEPKdPdEvb18rocblas_operation_iiiiT1_T2_lllS7_lllS6_T3_llli
		.amdhsa_group_segment_fixed_size 16384
		.amdhsa_private_segment_fixed_size 0
		.amdhsa_kernarg_size 140
		.amdhsa_user_sgpr_count 4
		.amdhsa_user_sgpr_dispatch_ptr 1
		.amdhsa_user_sgpr_queue_ptr 0
		.amdhsa_user_sgpr_kernarg_segment_ptr 1
		.amdhsa_user_sgpr_dispatch_id 0
		.amdhsa_user_sgpr_kernarg_preload_length 0
		.amdhsa_user_sgpr_kernarg_preload_offset 0
		.amdhsa_user_sgpr_private_segment_size 0
		.amdhsa_wavefront_size32 1
		.amdhsa_uses_dynamic_stack 0
		.amdhsa_enable_private_segment 0
		.amdhsa_system_sgpr_workgroup_id_x 1
		.amdhsa_system_sgpr_workgroup_id_y 0
		.amdhsa_system_sgpr_workgroup_id_z 1
		.amdhsa_system_sgpr_workgroup_info 0
		.amdhsa_system_vgpr_workitem_id 2
		.amdhsa_next_free_vgpr 30
		.amdhsa_next_free_sgpr 40
		.amdhsa_named_barrier_count 0
		.amdhsa_reserve_vcc 1
		.amdhsa_float_round_mode_32 0
		.amdhsa_float_round_mode_16_64 0
		.amdhsa_float_denorm_mode_32 3
		.amdhsa_float_denorm_mode_16_64 3
		.amdhsa_fp16_overflow 0
		.amdhsa_memory_ordered 1
		.amdhsa_forward_progress 1
		.amdhsa_inst_pref_size 10
		.amdhsa_round_robin_scheduling 0
		.amdhsa_exception_fp_ieee_invalid_op 0
		.amdhsa_exception_fp_denorm_src 0
		.amdhsa_exception_fp_ieee_div_zero 0
		.amdhsa_exception_fp_ieee_overflow 0
		.amdhsa_exception_fp_ieee_underflow 0
		.amdhsa_exception_fp_ieee_inexact 0
		.amdhsa_exception_int_div_zero 0
	.end_amdhsa_kernel
	.section	.text._ZL20rocblas_gbmvt_kernelILi64ELi16E24rocblas_internal_val_ptrIdEPKdPdEvb18rocblas_operation_iiiiT1_T2_lllS7_lllS6_T3_llli,"axG",@progbits,_ZL20rocblas_gbmvt_kernelILi64ELi16E24rocblas_internal_val_ptrIdEPKdPdEvb18rocblas_operation_iiiiT1_T2_lllS7_lllS6_T3_llli,comdat
.Lfunc_end19:
	.size	_ZL20rocblas_gbmvt_kernelILi64ELi16E24rocblas_internal_val_ptrIdEPKdPdEvb18rocblas_operation_iiiiT1_T2_lllS7_lllS6_T3_llli, .Lfunc_end19-_ZL20rocblas_gbmvt_kernelILi64ELi16E24rocblas_internal_val_ptrIdEPKdPdEvb18rocblas_operation_iiiiT1_T2_lllS7_lllS6_T3_llli
                                        ; -- End function
	.set _ZL20rocblas_gbmvt_kernelILi64ELi16E24rocblas_internal_val_ptrIdEPKdPdEvb18rocblas_operation_iiiiT1_T2_lllS7_lllS6_T3_llli.num_vgpr, 30
	.set _ZL20rocblas_gbmvt_kernelILi64ELi16E24rocblas_internal_val_ptrIdEPKdPdEvb18rocblas_operation_iiiiT1_T2_lllS7_lllS6_T3_llli.num_agpr, 0
	.set _ZL20rocblas_gbmvt_kernelILi64ELi16E24rocblas_internal_val_ptrIdEPKdPdEvb18rocblas_operation_iiiiT1_T2_lllS7_lllS6_T3_llli.numbered_sgpr, 40
	.set _ZL20rocblas_gbmvt_kernelILi64ELi16E24rocblas_internal_val_ptrIdEPKdPdEvb18rocblas_operation_iiiiT1_T2_lllS7_lllS6_T3_llli.num_named_barrier, 0
	.set _ZL20rocblas_gbmvt_kernelILi64ELi16E24rocblas_internal_val_ptrIdEPKdPdEvb18rocblas_operation_iiiiT1_T2_lllS7_lllS6_T3_llli.private_seg_size, 0
	.set _ZL20rocblas_gbmvt_kernelILi64ELi16E24rocblas_internal_val_ptrIdEPKdPdEvb18rocblas_operation_iiiiT1_T2_lllS7_lllS6_T3_llli.uses_vcc, 1
	.set _ZL20rocblas_gbmvt_kernelILi64ELi16E24rocblas_internal_val_ptrIdEPKdPdEvb18rocblas_operation_iiiiT1_T2_lllS7_lllS6_T3_llli.uses_flat_scratch, 0
	.set _ZL20rocblas_gbmvt_kernelILi64ELi16E24rocblas_internal_val_ptrIdEPKdPdEvb18rocblas_operation_iiiiT1_T2_lllS7_lllS6_T3_llli.has_dyn_sized_stack, 0
	.set _ZL20rocblas_gbmvt_kernelILi64ELi16E24rocblas_internal_val_ptrIdEPKdPdEvb18rocblas_operation_iiiiT1_T2_lllS7_lllS6_T3_llli.has_recursion, 0
	.set _ZL20rocblas_gbmvt_kernelILi64ELi16E24rocblas_internal_val_ptrIdEPKdPdEvb18rocblas_operation_iiiiT1_T2_lllS7_lllS6_T3_llli.has_indirect_call, 0
	.section	.AMDGPU.csdata,"",@progbits
; Kernel info:
; codeLenInByte = 1224
; TotalNumSgprs: 42
; NumVgprs: 30
; ScratchSize: 0
; MemoryBound: 1
; FloatMode: 240
; IeeeMode: 1
; LDSByteSize: 16384 bytes/workgroup (compile time only)
; SGPRBlocks: 0
; VGPRBlocks: 1
; NumSGPRsForWavesPerEU: 42
; NumVGPRsForWavesPerEU: 30
; NamedBarCnt: 0
; Occupancy: 16
; WaveLimiterHint : 0
; COMPUTE_PGM_RSRC2:SCRATCH_EN: 0
; COMPUTE_PGM_RSRC2:USER_SGPR: 4
; COMPUTE_PGM_RSRC2:TRAP_HANDLER: 0
; COMPUTE_PGM_RSRC2:TGID_X_EN: 1
; COMPUTE_PGM_RSRC2:TGID_Y_EN: 0
; COMPUTE_PGM_RSRC2:TGID_Z_EN: 1
; COMPUTE_PGM_RSRC2:TIDIG_COMP_CNT: 2
	.section	.text._ZL20rocblas_gbmvn_kernelILi32ELi32E24rocblas_internal_val_ptrI19rocblas_complex_numIfEEPKS2_PS2_EvbiiiiT1_T2_lllS8_lllS7_T3_llli,"axG",@progbits,_ZL20rocblas_gbmvn_kernelILi32ELi32E24rocblas_internal_val_ptrI19rocblas_complex_numIfEEPKS2_PS2_EvbiiiiT1_T2_lllS8_lllS7_T3_llli,comdat
	.globl	_ZL20rocblas_gbmvn_kernelILi32ELi32E24rocblas_internal_val_ptrI19rocblas_complex_numIfEEPKS2_PS2_EvbiiiiT1_T2_lllS8_lllS7_T3_llli ; -- Begin function _ZL20rocblas_gbmvn_kernelILi32ELi32E24rocblas_internal_val_ptrI19rocblas_complex_numIfEEPKS2_PS2_EvbiiiiT1_T2_lllS8_lllS7_T3_llli
	.p2align	8
	.type	_ZL20rocblas_gbmvn_kernelILi32ELi32E24rocblas_internal_val_ptrI19rocblas_complex_numIfEEPKS2_PS2_EvbiiiiT1_T2_lllS8_lllS7_T3_llli,@function
_ZL20rocblas_gbmvn_kernelILi32ELi32E24rocblas_internal_val_ptrI19rocblas_complex_numIfEEPKS2_PS2_EvbiiiiT1_T2_lllS8_lllS7_T3_llli: ; @_ZL20rocblas_gbmvn_kernelILi32ELi32E24rocblas_internal_val_ptrI19rocblas_complex_numIfEEPKS2_PS2_EvbiiiiT1_T2_lllS8_lllS7_T3_llli
; %bb.0:
	s_load_b32 s33, s[0:1], 0x88
	s_bfe_u32 s2, ttmp6, 0x40014
	s_lshr_b32 s3, ttmp7, 16
	s_add_co_i32 s2, s2, 1
	s_bfe_u32 s5, ttmp6, 0x40008
	s_mul_i32 s4, s3, s2
	s_getreg_b32 s2, hwreg(HW_REG_IB_STS2, 6, 4)
	s_add_co_i32 s5, s5, s4
	s_cmp_eq_u32 s2, 0
	s_mov_b32 s35, 0
	s_cselect_b32 s34, s3, s5
	s_wait_kmcnt 0x0
	s_cmp_ge_u32 s34, s33
	s_cbranch_scc1 .LBB20_24
; %bb.1:
	s_clause 0x2
	s_load_b128 s[28:31], s[0:1], 0x0
	s_load_b256 s[20:27], s[0:1], 0x58
	s_load_b32 s42, s[0:1], 0x10
	v_bfe_u32 v1, v0, 10, 10
	s_load_b128 s[36:39], s[0:1], 0x78
	v_and_b32_e32 v12, 0x3ff, v0
	v_mov_b32_e32 v3, 0
	s_wait_kmcnt 0x0
	s_bitcmp1_b32 s28, 0
	s_cselect_b32 s3, -1, 0
	s_bfe_u32 s4, ttmp6, 0x4000c
	s_and_b32 s5, ttmp6, 15
	s_add_co_i32 s4, s4, 1
	s_lshl_b64 s[40:41], s[26:27], 3
	s_mul_i32 s4, ttmp9, s4
	s_xor_b32 s26, s3, -1
	s_add_co_i32 s5, s5, s4
	s_cmp_eq_u32 s2, 0
	s_add_nc_u64 s[24:25], s[24:25], s[40:41]
	s_cselect_b32 s2, ttmp9, s5
	s_load_b512 s[4:19], s[0:1], 0x18
	v_lshl_add_u32 v4, s2, 5, v1
	s_wait_xcnt 0x0
	v_cmp_eq_u32_e64 s0, 0, v12
	s_delay_alu instid0(VALU_DEP_2) | instskip(SKIP_2) | instid1(VALU_DEP_3)
	v_subrev_nc_u32_e32 v1, s31, v4
	v_ashrrev_i32_e32 v5, 31, v4
	v_cmp_gt_i32_e64 s1, s29, v4
	v_max_i32_e32 v0, 0, v1
	s_delay_alu instid0(VALU_DEP_3) | instskip(SKIP_2) | instid1(VALU_DEP_1)
	v_mul_u64_e32 v[10:11], s[36:37], v[4:5]
	v_min_i32_e32 v5, s31, v4
	s_mov_b64 s[36:37], 0xffffffffffffff00
	v_dual_add_nc_u32 v0, v0, v12 :: v_dual_add_nc_u32 v13, s42, v5
	v_sub_nc_u32_e32 v2, s42, v12
	s_wait_kmcnt 0x0
	s_lshl_b64 s[2:3], s[8:9], 3
	s_delay_alu instid0(VALU_DEP_2) | instskip(SKIP_3) | instid1(VALU_DEP_2)
	v_ashrrev_i32_e32 v1, 31, v0
	s_lshl_b64 s[8:9], s[12:13], 3
	s_lshl_b64 s[12:13], s[16:17], 3
	v_dual_add_nc_u32 v2, v2, v5 :: v_dual_sub_nc_u32 v5, v13, v12
	v_mul_u64_e32 v[6:7], s[10:11], v[0:1]
	v_mul_u64_e32 v[8:9], s[18:19], v[0:1]
	v_mbcnt_lo_u32_b32 v1, -1, 0
	s_lshl_b64 s[10:11], s[10:11], 8
	s_delay_alu instid0(VALU_DEP_1) | instskip(NEXT) | instid1(VALU_DEP_4)
	v_lshl_or_b32 v16, v1, 2, 64
	v_lshl_add_u64 v[6:7], v[6:7], 3, s[2:3]
	s_add_nc_u64 s[2:3], s[14:15], s[12:13]
	s_lshl_b64 s[12:13], s[18:19], 8
	s_delay_alu instid0(VALU_DEP_4)
	v_lshl_add_u64 v[8:9], v[8:9], 3, s[2:3]
	v_cmp_lt_i32_e64 s2, -1, v2
	v_lshl_add_u64 v[6:7], v[2:3], 3, v[6:7]
	v_add_nc_u32_e32 v2, 32, v5
	v_lshl_add_u64 v[4:5], v[10:11], 3, s[24:25]
	v_add_nc_u64_e32 v[8:9], 4, v[8:9]
	s_delay_alu instid0(VALU_DEP_4)
	v_add_nc_u64_e32 v[6:7], s[6:7], v[6:7]
	s_add_nc_u64 s[6:7], s[10:11], s[36:37]
	s_lshl_b64 s[10:11], s[20:21], 3
	s_branch .LBB20_5
.LBB20_2:                               ;   in Loop: Header=BB20_5 Depth=1
	global_store_b64 v[12:13], v[10:11], off
.LBB20_3:                               ;   in Loop: Header=BB20_5 Depth=1
	s_wait_xcnt 0x0
	s_or_b32 exec_lo, exec_lo, s3
.LBB20_4:                               ;   in Loop: Header=BB20_5 Depth=1
	s_add_co_i32 s34, s34, 0x10000
	s_delay_alu instid0(SALU_CYCLE_1)
	s_cmp_lt_u32 s34, s33
	s_cbranch_scc0 .LBB20_24
.LBB20_5:                               ; =>This Loop Header: Depth=1
                                        ;     Child Loop BB20_17 Depth 2
	v_mov_b64_e32 v[10:11], s[4:5]
	s_and_not1_b32 vcc_lo, exec_lo, s26
	s_cbranch_vccnz .LBB20_7
; %bb.6:                                ;   in Loop: Header=BB20_5 Depth=1
	global_load_b64 v[10:11], v3, s[4:5]
.LBB20_7:                               ;   in Loop: Header=BB20_5 Depth=1
	s_and_not1_b32 vcc_lo, exec_lo, s26
	s_mov_b64 s[14:15], s[22:23]
	s_cbranch_vccnz .LBB20_9
; %bb.8:                                ;   in Loop: Header=BB20_5 Depth=1
	global_load_b64 v[12:13], v3, s[22:23]
	s_wait_loadcnt 0x0
	v_readfirstlane_b32 s14, v12
	v_readfirstlane_b32 s15, v13
.LBB20_9:                               ;   in Loop: Header=BB20_5 Depth=1
	s_wait_loadcnt 0x0
	v_cmp_neq_f32_e32 vcc_lo, 0, v10
	v_cmp_neq_f32_e64 s3, 0, v11
	s_or_b32 s16, vcc_lo, s3
	s_mov_b32 s3, -1
	s_and_b32 vcc_lo, exec_lo, s16
	s_cbranch_vccz .LBB20_11
; %bb.10:                               ;   in Loop: Header=BB20_5 Depth=1
	s_and_not1_b32 vcc_lo, exec_lo, s3
	s_cbranch_vccnz .LBB20_4
	s_branch .LBB20_12
.LBB20_11:                              ;   in Loop: Header=BB20_5 Depth=1
	s_cmp_neq_f32 s14, 1.0
	s_cselect_b32 s3, -1, 0
	s_and_b32 s17, s15, 0x7fffffff
	s_delay_alu instid0(SALU_CYCLE_1) | instskip(SKIP_1) | instid1(SALU_CYCLE_1)
	s_cmp_lg_u32 s17, 0
	s_cselect_b32 s17, -1, 0
	s_or_b32 s3, s3, s17
	s_delay_alu instid0(SALU_CYCLE_1)
	s_and_not1_b32 vcc_lo, exec_lo, s3
	s_cbranch_vccnz .LBB20_4
.LBB20_12:                              ;   in Loop: Header=BB20_5 Depth=1
	s_wait_xcnt 0x0
	s_and_saveexec_b32 s3, s1
	s_cbranch_execz .LBB20_3
; %bb.13:                               ;   in Loop: Header=BB20_5 Depth=1
	s_and_not1_b32 vcc_lo, exec_lo, s16
	s_cbranch_vccnz .LBB20_19
; %bb.14:                               ;   in Loop: Header=BB20_5 Depth=1
	v_dual_mov_b32 v17, 0 :: v_dual_mov_b32 v18, 0
	s_and_saveexec_b32 s16, s2
	s_cbranch_execz .LBB20_21
; %bb.15:                               ;   in Loop: Header=BB20_5 Depth=1
	v_mad_nc_u64_u32 v[12:13], s8, s34, v[6:7]
	v_mad_nc_u64_u32 v[14:15], s10, s34, v[8:9]
	v_dual_mov_b32 v17, 0 :: v_dual_mov_b32 v19, v2
	v_dual_mov_b32 v20, v0 :: v_dual_mov_b32 v18, 0
	s_mov_b32 s17, 0
	s_delay_alu instid0(VALU_DEP_4) | instskip(NEXT) | instid1(VALU_DEP_4)
	v_mad_u32 v13, s9, s34, v13
	v_mad_u32 v15, s11, s34, v15
	s_branch .LBB20_17
.LBB20_16:                              ;   in Loop: Header=BB20_17 Depth=2
	s_wait_xcnt 0x0
	s_or_b32 exec_lo, exec_lo, s18
	v_subrev_nc_u32_e32 v19, 32, v19
	s_delay_alu instid0(VALU_DEP_4) | instskip(NEXT) | instid1(VALU_DEP_4)
	v_add_nc_u64_e32 v[12:13], s[6:7], v[12:13]
	v_add_nc_u64_e32 v[14:15], s[12:13], v[14:15]
	v_add_nc_u32_e32 v20, 32, v20
	s_delay_alu instid0(VALU_DEP_4) | instskip(SKIP_1) | instid1(SALU_CYCLE_1)
	v_cmp_gt_u32_e32 vcc_lo, 32, v19
	s_or_b32 s17, vcc_lo, s17
	s_and_not1_b32 exec_lo, exec_lo, s17
	s_cbranch_execz .LBB20_20
.LBB20_17:                              ;   Parent Loop BB20_5 Depth=1
                                        ; =>  This Inner Loop Header: Depth=2
	s_mov_b32 s18, exec_lo
	v_cmpx_gt_i32_e64 s30, v20
	s_cbranch_execz .LBB20_16
; %bb.18:                               ;   in Loop: Header=BB20_17 Depth=2
	global_load_b64 v[22:23], v[12:13], off
	global_load_b64 v[24:25], v[14:15], off offset:-4
	s_wait_loadcnt 0x0
	v_dual_mul_f32 v21, v25, v23 :: v_dual_mul_f32 v23, v24, v23
	s_delay_alu instid0(VALU_DEP_1) | instskip(NEXT) | instid1(VALU_DEP_1)
	v_dual_fma_f32 v21, v24, v22, -v21 :: v_dual_fmac_f32 v23, v25, v22
	v_dual_add_f32 v18, v18, v21 :: v_dual_add_f32 v17, v17, v23
	s_branch .LBB20_16
.LBB20_19:                              ;   in Loop: Header=BB20_5 Depth=1
	v_mov_b64_e32 v[10:11], 0
	s_and_b32 exec_lo, exec_lo, s0
	s_cbranch_execz .LBB20_3
	s_branch .LBB20_22
.LBB20_20:                              ;   in Loop: Header=BB20_5 Depth=1
	s_or_b32 exec_lo, exec_lo, s17
.LBB20_21:                              ;   in Loop: Header=BB20_5 Depth=1
	s_delay_alu instid0(SALU_CYCLE_1)
	s_or_b32 exec_lo, exec_lo, s16
	ds_bpermute_b32 v12, v16, v17
	ds_bpermute_b32 v13, v16, v18
	v_cmp_gt_u32_e32 vcc_lo, 24, v1
	s_wait_dscnt 0x0
	s_barrier_signal -1
	s_barrier_wait -1
	v_cndmask_b32_e64 v14, 0, 8, vcc_lo
	v_cmp_gt_u32_e32 vcc_lo, 28, v1
	s_delay_alu instid0(VALU_DEP_2)
	v_add_lshl_u32 v14, v14, v1, 2
	v_dual_add_f32 v12, v17, v12 :: v_dual_add_f32 v13, v18, v13
	v_cndmask_b32_e64 v17, 0, 4, vcc_lo
	v_cmp_gt_u32_e32 vcc_lo, 30, v1
	ds_bpermute_b32 v15, v14, v12
	ds_bpermute_b32 v14, v14, v13
	v_add_lshl_u32 v17, v17, v1, 2
	s_wait_dscnt 0x0
	v_dual_add_f32 v12, v12, v15 :: v_dual_add_f32 v13, v13, v14
	ds_bpermute_b32 v14, v17, v12
	ds_bpermute_b32 v15, v17, v13
	v_cndmask_b32_e64 v17, 0, 2, vcc_lo
	v_cmp_ne_u32_e32 vcc_lo, 31, v1
	s_delay_alu instid0(VALU_DEP_2)
	v_add_lshl_u32 v17, v17, v1, 2
	s_wait_dscnt 0x0
	v_dual_add_f32 v12, v12, v14 :: v_dual_add_f32 v13, v13, v15
	ds_bpermute_b32 v14, v17, v12
	ds_bpermute_b32 v15, v17, v13
	v_add_co_ci_u32_e64 v17, null, 0, v1, vcc_lo
	s_wait_dscnt 0x1
	s_delay_alu instid0(VALU_DEP_1)
	v_dual_add_f32 v12, v12, v14 :: v_dual_lshlrev_b32 v14, 2, v17
	s_wait_dscnt 0x0
	v_add_f32_e32 v13, v13, v15
	ds_bpermute_b32 v15, v14, v12
	s_wait_dscnt 0x0
	v_add_f32_e32 v12, v12, v15
	ds_bpermute_b32 v14, v14, v13
	s_wait_dscnt 0x0
	v_add_f32_e32 v14, v13, v14
	v_pk_mul_f32 v[12:13], v[10:11], v[12:13] op_sel:[1,0] op_sel_hi:[0,0]
	s_delay_alu instid0(VALU_DEP_1) | instskip(SKIP_1) | instid1(VALU_DEP_2)
	v_pk_fma_f32 v[18:19], v[10:11], v[14:15], v[12:13] op_sel_hi:[1,0,1]
	v_pk_fma_f32 v[10:11], v[10:11], v[14:15], v[12:13] neg_lo:[0,0,1] neg_hi:[0,0,1]
	v_mov_b32_e32 v11, v19
	s_and_b32 exec_lo, exec_lo, s0
	s_cbranch_execz .LBB20_3
.LBB20_22:                              ;   in Loop: Header=BB20_5 Depth=1
	s_mul_u64 s[16:17], s[38:39], s[34:35]
	s_or_b32 s18, s14, s15
	v_lshl_add_u64 v[12:13], s[16:17], 3, v[4:5]
	s_bitset0_b32 s18, 31
	s_delay_alu instid0(SALU_CYCLE_1)
	s_cmp_eq_u32 s18, 0
	s_cbranch_scc1 .LBB20_2
; %bb.23:                               ;   in Loop: Header=BB20_5 Depth=1
	global_load_b64 v[14:15], v[12:13], off
	v_mov_b64_e32 v[18:19], s[14:15]
	s_wait_loadcnt 0x0
	s_delay_alu instid0(VALU_DEP_1) | instskip(NEXT) | instid1(VALU_DEP_1)
	v_pk_mul_f32 v[20:21], v[14:15], v[18:19] op_sel:[1,1] op_sel_hi:[0,1]
	v_pk_fma_f32 v[22:23], v[14:15], s[14:15], v[20:21] op_sel_hi:[1,0,1]
	v_pk_fma_f32 v[14:15], v[14:15], v[18:19], v[20:21] neg_lo:[0,0,1] neg_hi:[0,0,1]
	s_delay_alu instid0(VALU_DEP_2) | instskip(NEXT) | instid1(VALU_DEP_1)
	v_mov_b32_e32 v15, v23
	v_pk_add_f32 v[10:11], v[10:11], v[14:15]
	s_branch .LBB20_2
.LBB20_24:
	s_endpgm
	.section	.rodata,"a",@progbits
	.p2align	6, 0x0
	.amdhsa_kernel _ZL20rocblas_gbmvn_kernelILi32ELi32E24rocblas_internal_val_ptrI19rocblas_complex_numIfEEPKS2_PS2_EvbiiiiT1_T2_lllS8_lllS7_T3_llli
		.amdhsa_group_segment_fixed_size 0
		.amdhsa_private_segment_fixed_size 0
		.amdhsa_kernarg_size 140
		.amdhsa_user_sgpr_count 2
		.amdhsa_user_sgpr_dispatch_ptr 0
		.amdhsa_user_sgpr_queue_ptr 0
		.amdhsa_user_sgpr_kernarg_segment_ptr 1
		.amdhsa_user_sgpr_dispatch_id 0
		.amdhsa_user_sgpr_kernarg_preload_length 0
		.amdhsa_user_sgpr_kernarg_preload_offset 0
		.amdhsa_user_sgpr_private_segment_size 0
		.amdhsa_wavefront_size32 1
		.amdhsa_uses_dynamic_stack 0
		.amdhsa_enable_private_segment 0
		.amdhsa_system_sgpr_workgroup_id_x 1
		.amdhsa_system_sgpr_workgroup_id_y 0
		.amdhsa_system_sgpr_workgroup_id_z 1
		.amdhsa_system_sgpr_workgroup_info 0
		.amdhsa_system_vgpr_workitem_id 1
		.amdhsa_next_free_vgpr 26
		.amdhsa_next_free_sgpr 43
		.amdhsa_named_barrier_count 0
		.amdhsa_reserve_vcc 1
		.amdhsa_float_round_mode_32 0
		.amdhsa_float_round_mode_16_64 0
		.amdhsa_float_denorm_mode_32 3
		.amdhsa_float_denorm_mode_16_64 3
		.amdhsa_fp16_overflow 0
		.amdhsa_memory_ordered 1
		.amdhsa_forward_progress 1
		.amdhsa_inst_pref_size 10
		.amdhsa_round_robin_scheduling 0
		.amdhsa_exception_fp_ieee_invalid_op 0
		.amdhsa_exception_fp_denorm_src 0
		.amdhsa_exception_fp_ieee_div_zero 0
		.amdhsa_exception_fp_ieee_overflow 0
		.amdhsa_exception_fp_ieee_underflow 0
		.amdhsa_exception_fp_ieee_inexact 0
		.amdhsa_exception_int_div_zero 0
	.end_amdhsa_kernel
	.section	.text._ZL20rocblas_gbmvn_kernelILi32ELi32E24rocblas_internal_val_ptrI19rocblas_complex_numIfEEPKS2_PS2_EvbiiiiT1_T2_lllS8_lllS7_T3_llli,"axG",@progbits,_ZL20rocblas_gbmvn_kernelILi32ELi32E24rocblas_internal_val_ptrI19rocblas_complex_numIfEEPKS2_PS2_EvbiiiiT1_T2_lllS8_lllS7_T3_llli,comdat
.Lfunc_end20:
	.size	_ZL20rocblas_gbmvn_kernelILi32ELi32E24rocblas_internal_val_ptrI19rocblas_complex_numIfEEPKS2_PS2_EvbiiiiT1_T2_lllS8_lllS7_T3_llli, .Lfunc_end20-_ZL20rocblas_gbmvn_kernelILi32ELi32E24rocblas_internal_val_ptrI19rocblas_complex_numIfEEPKS2_PS2_EvbiiiiT1_T2_lllS8_lllS7_T3_llli
                                        ; -- End function
	.set _ZL20rocblas_gbmvn_kernelILi32ELi32E24rocblas_internal_val_ptrI19rocblas_complex_numIfEEPKS2_PS2_EvbiiiiT1_T2_lllS8_lllS7_T3_llli.num_vgpr, 26
	.set _ZL20rocblas_gbmvn_kernelILi32ELi32E24rocblas_internal_val_ptrI19rocblas_complex_numIfEEPKS2_PS2_EvbiiiiT1_T2_lllS8_lllS7_T3_llli.num_agpr, 0
	.set _ZL20rocblas_gbmvn_kernelILi32ELi32E24rocblas_internal_val_ptrI19rocblas_complex_numIfEEPKS2_PS2_EvbiiiiT1_T2_lllS8_lllS7_T3_llli.numbered_sgpr, 43
	.set _ZL20rocblas_gbmvn_kernelILi32ELi32E24rocblas_internal_val_ptrI19rocblas_complex_numIfEEPKS2_PS2_EvbiiiiT1_T2_lllS8_lllS7_T3_llli.num_named_barrier, 0
	.set _ZL20rocblas_gbmvn_kernelILi32ELi32E24rocblas_internal_val_ptrI19rocblas_complex_numIfEEPKS2_PS2_EvbiiiiT1_T2_lllS8_lllS7_T3_llli.private_seg_size, 0
	.set _ZL20rocblas_gbmvn_kernelILi32ELi32E24rocblas_internal_val_ptrI19rocblas_complex_numIfEEPKS2_PS2_EvbiiiiT1_T2_lllS8_lllS7_T3_llli.uses_vcc, 1
	.set _ZL20rocblas_gbmvn_kernelILi32ELi32E24rocblas_internal_val_ptrI19rocblas_complex_numIfEEPKS2_PS2_EvbiiiiT1_T2_lllS8_lllS7_T3_llli.uses_flat_scratch, 0
	.set _ZL20rocblas_gbmvn_kernelILi32ELi32E24rocblas_internal_val_ptrI19rocblas_complex_numIfEEPKS2_PS2_EvbiiiiT1_T2_lllS8_lllS7_T3_llli.has_dyn_sized_stack, 0
	.set _ZL20rocblas_gbmvn_kernelILi32ELi32E24rocblas_internal_val_ptrI19rocblas_complex_numIfEEPKS2_PS2_EvbiiiiT1_T2_lllS8_lllS7_T3_llli.has_recursion, 0
	.set _ZL20rocblas_gbmvn_kernelILi32ELi32E24rocblas_internal_val_ptrI19rocblas_complex_numIfEEPKS2_PS2_EvbiiiiT1_T2_lllS8_lllS7_T3_llli.has_indirect_call, 0
	.section	.AMDGPU.csdata,"",@progbits
; Kernel info:
; codeLenInByte = 1260
; TotalNumSgprs: 45
; NumVgprs: 26
; ScratchSize: 0
; MemoryBound: 0
; FloatMode: 240
; IeeeMode: 1
; LDSByteSize: 0 bytes/workgroup (compile time only)
; SGPRBlocks: 0
; VGPRBlocks: 1
; NumSGPRsForWavesPerEU: 45
; NumVGPRsForWavesPerEU: 26
; NamedBarCnt: 0
; Occupancy: 16
; WaveLimiterHint : 0
; COMPUTE_PGM_RSRC2:SCRATCH_EN: 0
; COMPUTE_PGM_RSRC2:USER_SGPR: 2
; COMPUTE_PGM_RSRC2:TRAP_HANDLER: 0
; COMPUTE_PGM_RSRC2:TGID_X_EN: 1
; COMPUTE_PGM_RSRC2:TGID_Y_EN: 0
; COMPUTE_PGM_RSRC2:TGID_Z_EN: 1
; COMPUTE_PGM_RSRC2:TIDIG_COMP_CNT: 1
	.section	.text._ZL20rocblas_gbmvn_kernelILi64ELi16E24rocblas_internal_val_ptrI19rocblas_complex_numIfEEPKS2_PS2_EvbiiiiT1_T2_lllS8_lllS7_T3_llli,"axG",@progbits,_ZL20rocblas_gbmvn_kernelILi64ELi16E24rocblas_internal_val_ptrI19rocblas_complex_numIfEEPKS2_PS2_EvbiiiiT1_T2_lllS8_lllS7_T3_llli,comdat
	.globl	_ZL20rocblas_gbmvn_kernelILi64ELi16E24rocblas_internal_val_ptrI19rocblas_complex_numIfEEPKS2_PS2_EvbiiiiT1_T2_lllS8_lllS7_T3_llli ; -- Begin function _ZL20rocblas_gbmvn_kernelILi64ELi16E24rocblas_internal_val_ptrI19rocblas_complex_numIfEEPKS2_PS2_EvbiiiiT1_T2_lllS8_lllS7_T3_llli
	.p2align	8
	.type	_ZL20rocblas_gbmvn_kernelILi64ELi16E24rocblas_internal_val_ptrI19rocblas_complex_numIfEEPKS2_PS2_EvbiiiiT1_T2_lllS8_lllS7_T3_llli,@function
_ZL20rocblas_gbmvn_kernelILi64ELi16E24rocblas_internal_val_ptrI19rocblas_complex_numIfEEPKS2_PS2_EvbiiiiT1_T2_lllS8_lllS7_T3_llli: ; @_ZL20rocblas_gbmvn_kernelILi64ELi16E24rocblas_internal_val_ptrI19rocblas_complex_numIfEEPKS2_PS2_EvbiiiiT1_T2_lllS8_lllS7_T3_llli
; %bb.0:
	s_load_b32 s33, s[0:1], 0x88
	s_bfe_u32 s2, ttmp6, 0x40014
	s_lshr_b32 s3, ttmp7, 16
	s_add_co_i32 s2, s2, 1
	s_bfe_u32 s5, ttmp6, 0x40008
	s_mul_i32 s4, s3, s2
	s_getreg_b32 s2, hwreg(HW_REG_IB_STS2, 6, 4)
	s_add_co_i32 s5, s5, s4
	s_cmp_eq_u32 s2, 0
	s_mov_b32 s35, 0
	s_cselect_b32 s34, s3, s5
	s_wait_kmcnt 0x0
	s_cmp_ge_u32 s34, s33
	s_cbranch_scc1 .LBB21_24
; %bb.1:
	s_clause 0x2
	s_load_b128 s[28:31], s[0:1], 0x0
	s_load_b256 s[20:27], s[0:1], 0x58
	s_load_b32 s42, s[0:1], 0x10
	v_bfe_u32 v1, v0, 10, 10
	s_load_b128 s[36:39], s[0:1], 0x78
	v_and_b32_e32 v12, 0x3ff, v0
	v_mov_b32_e32 v3, 0
	s_wait_kmcnt 0x0
	s_bitcmp1_b32 s28, 0
	s_cselect_b32 s3, -1, 0
	s_bfe_u32 s4, ttmp6, 0x4000c
	s_and_b32 s5, ttmp6, 15
	s_add_co_i32 s4, s4, 1
	s_lshl_b64 s[40:41], s[26:27], 3
	s_mul_i32 s4, ttmp9, s4
	s_xor_b32 s26, s3, -1
	s_add_co_i32 s5, s5, s4
	s_cmp_eq_u32 s2, 0
	s_add_nc_u64 s[24:25], s[24:25], s[40:41]
	s_cselect_b32 s2, ttmp9, s5
	s_load_b512 s[4:19], s[0:1], 0x18
	v_lshl_add_u32 v4, s2, 4, v1
	s_wait_xcnt 0x0
	v_cmp_eq_u32_e64 s0, 0, v12
	v_sub_nc_u32_e32 v2, s42, v12
	s_delay_alu instid0(VALU_DEP_3) | instskip(SKIP_2) | instid1(VALU_DEP_3)
	v_subrev_nc_u32_e32 v1, s31, v4
	v_ashrrev_i32_e32 v5, 31, v4
	v_cmp_gt_i32_e64 s1, s29, v4
	v_max_i32_e32 v0, 0, v1
	s_delay_alu instid0(VALU_DEP_3) | instskip(SKIP_2) | instid1(VALU_DEP_1)
	v_mul_u64_e32 v[10:11], s[36:37], v[4:5]
	v_min_i32_e32 v5, s31, v4
	s_mov_b64 s[36:37], 0xfffffffffffffe00
	v_dual_add_nc_u32 v0, v0, v12 :: v_dual_add_nc_u32 v13, s42, v5
	v_add_nc_u32_e32 v2, v2, v5
	s_wait_kmcnt 0x0
	s_lshl_b64 s[2:3], s[8:9], 3
	s_delay_alu instid0(VALU_DEP_2) | instskip(SKIP_3) | instid1(VALU_DEP_2)
	v_ashrrev_i32_e32 v1, 31, v0
	s_lshl_b64 s[8:9], s[12:13], 3
	s_lshl_b64 s[12:13], s[16:17], 3
	v_sub_nc_u32_e32 v5, v13, v12
	v_mul_u64_e32 v[6:7], s[10:11], v[0:1]
	v_mul_u64_e32 v[8:9], s[18:19], v[0:1]
	v_mbcnt_lo_u32_b32 v1, -1, 0
	s_lshl_b64 s[10:11], s[10:11], 9
	s_delay_alu instid0(VALU_DEP_1) | instskip(NEXT) | instid1(VALU_DEP_1)
	v_lshlrev_b32_e32 v16, 2, v1
	v_or_b32_e32 v17, 64, v16
	v_lshl_add_u64 v[6:7], v[6:7], 3, s[2:3]
	s_add_nc_u64 s[2:3], s[14:15], s[12:13]
	s_lshl_b64 s[12:13], s[18:19], 9
	v_lshl_add_u64 v[8:9], v[8:9], 3, s[2:3]
	v_cmp_lt_i32_e64 s2, -1, v2
	v_lshl_add_u64 v[6:7], v[2:3], 3, v[6:7]
	v_add_nc_u32_e32 v2, 64, v5
	v_lshl_add_u64 v[4:5], v[10:11], 3, s[24:25]
	v_add_nc_u64_e32 v[8:9], 4, v[8:9]
	s_delay_alu instid0(VALU_DEP_4)
	v_add_nc_u64_e32 v[6:7], s[6:7], v[6:7]
	s_add_nc_u64 s[6:7], s[10:11], s[36:37]
	s_lshl_b64 s[10:11], s[20:21], 3
	s_branch .LBB21_5
.LBB21_2:                               ;   in Loop: Header=BB21_5 Depth=1
	global_store_b64 v[12:13], v[10:11], off
.LBB21_3:                               ;   in Loop: Header=BB21_5 Depth=1
	s_wait_xcnt 0x0
	s_or_b32 exec_lo, exec_lo, s3
.LBB21_4:                               ;   in Loop: Header=BB21_5 Depth=1
	s_add_co_i32 s34, s34, 0x10000
	s_delay_alu instid0(SALU_CYCLE_1)
	s_cmp_lt_u32 s34, s33
	s_cbranch_scc0 .LBB21_24
.LBB21_5:                               ; =>This Loop Header: Depth=1
                                        ;     Child Loop BB21_17 Depth 2
	v_mov_b64_e32 v[10:11], s[4:5]
	s_and_not1_b32 vcc_lo, exec_lo, s26
	s_cbranch_vccnz .LBB21_7
; %bb.6:                                ;   in Loop: Header=BB21_5 Depth=1
	global_load_b64 v[10:11], v3, s[4:5]
.LBB21_7:                               ;   in Loop: Header=BB21_5 Depth=1
	s_and_not1_b32 vcc_lo, exec_lo, s26
	s_mov_b64 s[14:15], s[22:23]
	s_cbranch_vccnz .LBB21_9
; %bb.8:                                ;   in Loop: Header=BB21_5 Depth=1
	global_load_b64 v[12:13], v3, s[22:23]
	s_wait_loadcnt 0x0
	v_readfirstlane_b32 s14, v12
	v_readfirstlane_b32 s15, v13
.LBB21_9:                               ;   in Loop: Header=BB21_5 Depth=1
	s_wait_loadcnt 0x0
	v_cmp_neq_f32_e32 vcc_lo, 0, v10
	v_cmp_neq_f32_e64 s3, 0, v11
	s_or_b32 s16, vcc_lo, s3
	s_mov_b32 s3, -1
	s_and_b32 vcc_lo, exec_lo, s16
	s_cbranch_vccz .LBB21_11
; %bb.10:                               ;   in Loop: Header=BB21_5 Depth=1
	s_and_not1_b32 vcc_lo, exec_lo, s3
	s_cbranch_vccnz .LBB21_4
	s_branch .LBB21_12
.LBB21_11:                              ;   in Loop: Header=BB21_5 Depth=1
	s_cmp_neq_f32 s14, 1.0
	s_cselect_b32 s3, -1, 0
	s_and_b32 s17, s15, 0x7fffffff
	s_delay_alu instid0(SALU_CYCLE_1) | instskip(SKIP_1) | instid1(SALU_CYCLE_1)
	s_cmp_lg_u32 s17, 0
	s_cselect_b32 s17, -1, 0
	s_or_b32 s3, s3, s17
	s_delay_alu instid0(SALU_CYCLE_1)
	s_and_not1_b32 vcc_lo, exec_lo, s3
	s_cbranch_vccnz .LBB21_4
.LBB21_12:                              ;   in Loop: Header=BB21_5 Depth=1
	s_wait_xcnt 0x0
	s_and_saveexec_b32 s3, s1
	s_cbranch_execz .LBB21_3
; %bb.13:                               ;   in Loop: Header=BB21_5 Depth=1
	s_and_not1_b32 vcc_lo, exec_lo, s16
	s_cbranch_vccnz .LBB21_19
; %bb.14:                               ;   in Loop: Header=BB21_5 Depth=1
	v_dual_mov_b32 v18, 0 :: v_dual_mov_b32 v19, 0
	s_and_saveexec_b32 s16, s2
	s_cbranch_execz .LBB21_21
; %bb.15:                               ;   in Loop: Header=BB21_5 Depth=1
	v_mad_nc_u64_u32 v[12:13], s8, s34, v[6:7]
	v_mad_nc_u64_u32 v[14:15], s10, s34, v[8:9]
	v_dual_mov_b32 v18, 0 :: v_dual_mov_b32 v20, v2
	v_dual_mov_b32 v21, v0 :: v_dual_mov_b32 v19, 0
	s_mov_b32 s17, 0
	s_delay_alu instid0(VALU_DEP_4) | instskip(NEXT) | instid1(VALU_DEP_4)
	v_mad_u32 v13, s9, s34, v13
	v_mad_u32 v15, s11, s34, v15
	s_branch .LBB21_17
.LBB21_16:                              ;   in Loop: Header=BB21_17 Depth=2
	s_wait_xcnt 0x0
	s_or_b32 exec_lo, exec_lo, s18
	v_subrev_nc_u32_e32 v20, 64, v20
	s_delay_alu instid0(VALU_DEP_4) | instskip(NEXT) | instid1(VALU_DEP_4)
	v_add_nc_u64_e32 v[12:13], s[6:7], v[12:13]
	v_add_nc_u64_e32 v[14:15], s[12:13], v[14:15]
	v_add_nc_u32_e32 v21, 64, v21
	s_delay_alu instid0(VALU_DEP_4) | instskip(SKIP_1) | instid1(SALU_CYCLE_1)
	v_cmp_gt_u32_e32 vcc_lo, 64, v20
	s_or_b32 s17, vcc_lo, s17
	s_and_not1_b32 exec_lo, exec_lo, s17
	s_cbranch_execz .LBB21_20
.LBB21_17:                              ;   Parent Loop BB21_5 Depth=1
                                        ; =>  This Inner Loop Header: Depth=2
	s_mov_b32 s18, exec_lo
	v_cmpx_gt_i32_e64 s30, v21
	s_cbranch_execz .LBB21_16
; %bb.18:                               ;   in Loop: Header=BB21_17 Depth=2
	global_load_b64 v[22:23], v[12:13], off
	global_load_b64 v[24:25], v[14:15], off offset:-4
	s_wait_loadcnt 0x0
	v_dual_mul_f32 v26, v25, v23 :: v_dual_mul_f32 v23, v24, v23
	s_delay_alu instid0(VALU_DEP_1) | instskip(NEXT) | instid1(VALU_DEP_1)
	v_dual_fma_f32 v24, v24, v22, -v26 :: v_dual_fmac_f32 v23, v25, v22
	v_dual_add_f32 v19, v19, v24 :: v_dual_add_f32 v18, v18, v23
	s_branch .LBB21_16
.LBB21_19:                              ;   in Loop: Header=BB21_5 Depth=1
	v_mov_b64_e32 v[10:11], 0
	s_and_b32 exec_lo, exec_lo, s0
	s_cbranch_execz .LBB21_3
	s_branch .LBB21_22
.LBB21_20:                              ;   in Loop: Header=BB21_5 Depth=1
	s_or_b32 exec_lo, exec_lo, s17
.LBB21_21:                              ;   in Loop: Header=BB21_5 Depth=1
	s_delay_alu instid0(SALU_CYCLE_1)
	s_or_b32 exec_lo, exec_lo, s16
	ds_bpermute_b32 v12, v16, v18
	ds_bpermute_b32 v13, v16, v19
	v_cmp_gt_u32_e32 vcc_lo, 24, v1
	s_wait_dscnt 0x0
	s_barrier_signal -1
	s_barrier_wait -1
	v_dual_add_f32 v12, v18, v12 :: v_dual_add_f32 v13, v19, v13
	v_cndmask_b32_e64 v18, 0, 8, vcc_lo
	v_cmp_gt_u32_e32 vcc_lo, 28, v1
	ds_bpermute_b32 v14, v17, v12
	ds_bpermute_b32 v15, v17, v13
	v_add_lshl_u32 v18, v18, v1, 2
	s_wait_dscnt 0x0
	v_dual_add_f32 v12, v12, v14 :: v_dual_add_f32 v13, v13, v15
	ds_bpermute_b32 v14, v18, v12
	ds_bpermute_b32 v15, v18, v13
	v_cndmask_b32_e64 v18, 0, 4, vcc_lo
	v_cmp_gt_u32_e32 vcc_lo, 30, v1
	s_delay_alu instid0(VALU_DEP_2)
	v_add_lshl_u32 v18, v18, v1, 2
	s_wait_dscnt 0x0
	v_dual_add_f32 v12, v12, v14 :: v_dual_add_f32 v13, v13, v15
	ds_bpermute_b32 v14, v18, v12
	ds_bpermute_b32 v15, v18, v13
	v_cndmask_b32_e64 v18, 0, 2, vcc_lo
	v_cmp_ne_u32_e32 vcc_lo, 31, v1
	s_delay_alu instid0(VALU_DEP_2)
	v_add_lshl_u32 v18, v18, v1, 2
	s_wait_dscnt 0x0
	v_dual_add_f32 v12, v12, v14 :: v_dual_add_f32 v13, v13, v15
	ds_bpermute_b32 v14, v18, v12
	ds_bpermute_b32 v15, v18, v13
	v_add_co_ci_u32_e64 v18, null, 0, v1, vcc_lo
	s_wait_dscnt 0x0
	v_dual_add_f32 v12, v12, v14 :: v_dual_add_f32 v13, v13, v15
	s_delay_alu instid0(VALU_DEP_2)
	v_lshlrev_b32_e32 v14, 2, v18
	ds_bpermute_b32 v15, v14, v12
	s_wait_dscnt 0x0
	v_add_f32_e32 v12, v12, v15
	ds_bpermute_b32 v14, v14, v13
	s_wait_dscnt 0x0
	v_add_f32_e32 v14, v13, v14
	v_pk_mul_f32 v[12:13], v[10:11], v[12:13] op_sel:[1,0] op_sel_hi:[0,0]
	s_delay_alu instid0(VALU_DEP_1) | instskip(SKIP_1) | instid1(VALU_DEP_2)
	v_pk_fma_f32 v[18:19], v[10:11], v[14:15], v[12:13] op_sel_hi:[1,0,1]
	v_pk_fma_f32 v[10:11], v[10:11], v[14:15], v[12:13] neg_lo:[0,0,1] neg_hi:[0,0,1]
	v_mov_b32_e32 v11, v19
	s_and_b32 exec_lo, exec_lo, s0
	s_cbranch_execz .LBB21_3
.LBB21_22:                              ;   in Loop: Header=BB21_5 Depth=1
	s_mul_u64 s[16:17], s[38:39], s[34:35]
	s_or_b32 s18, s14, s15
	v_lshl_add_u64 v[12:13], s[16:17], 3, v[4:5]
	s_bitset0_b32 s18, 31
	s_delay_alu instid0(SALU_CYCLE_1)
	s_cmp_eq_u32 s18, 0
	s_cbranch_scc1 .LBB21_2
; %bb.23:                               ;   in Loop: Header=BB21_5 Depth=1
	global_load_b64 v[14:15], v[12:13], off
	v_mov_b64_e32 v[18:19], s[14:15]
	s_wait_loadcnt 0x0
	s_delay_alu instid0(VALU_DEP_1) | instskip(NEXT) | instid1(VALU_DEP_1)
	v_pk_mul_f32 v[20:21], v[14:15], v[18:19] op_sel:[1,1] op_sel_hi:[0,1]
	v_pk_fma_f32 v[22:23], v[14:15], s[14:15], v[20:21] op_sel_hi:[1,0,1]
	v_pk_fma_f32 v[14:15], v[14:15], v[18:19], v[20:21] neg_lo:[0,0,1] neg_hi:[0,0,1]
	s_delay_alu instid0(VALU_DEP_2) | instskip(NEXT) | instid1(VALU_DEP_1)
	v_mov_b32_e32 v15, v23
	v_pk_add_f32 v[10:11], v[10:11], v[14:15]
	s_branch .LBB21_2
.LBB21_24:
	s_endpgm
	.section	.rodata,"a",@progbits
	.p2align	6, 0x0
	.amdhsa_kernel _ZL20rocblas_gbmvn_kernelILi64ELi16E24rocblas_internal_val_ptrI19rocblas_complex_numIfEEPKS2_PS2_EvbiiiiT1_T2_lllS8_lllS7_T3_llli
		.amdhsa_group_segment_fixed_size 0
		.amdhsa_private_segment_fixed_size 0
		.amdhsa_kernarg_size 140
		.amdhsa_user_sgpr_count 2
		.amdhsa_user_sgpr_dispatch_ptr 0
		.amdhsa_user_sgpr_queue_ptr 0
		.amdhsa_user_sgpr_kernarg_segment_ptr 1
		.amdhsa_user_sgpr_dispatch_id 0
		.amdhsa_user_sgpr_kernarg_preload_length 0
		.amdhsa_user_sgpr_kernarg_preload_offset 0
		.amdhsa_user_sgpr_private_segment_size 0
		.amdhsa_wavefront_size32 1
		.amdhsa_uses_dynamic_stack 0
		.amdhsa_enable_private_segment 0
		.amdhsa_system_sgpr_workgroup_id_x 1
		.amdhsa_system_sgpr_workgroup_id_y 0
		.amdhsa_system_sgpr_workgroup_id_z 1
		.amdhsa_system_sgpr_workgroup_info 0
		.amdhsa_system_vgpr_workitem_id 1
		.amdhsa_next_free_vgpr 27
		.amdhsa_next_free_sgpr 43
		.amdhsa_named_barrier_count 0
		.amdhsa_reserve_vcc 1
		.amdhsa_float_round_mode_32 0
		.amdhsa_float_round_mode_16_64 0
		.amdhsa_float_denorm_mode_32 3
		.amdhsa_float_denorm_mode_16_64 3
		.amdhsa_fp16_overflow 0
		.amdhsa_memory_ordered 1
		.amdhsa_forward_progress 1
		.amdhsa_inst_pref_size 10
		.amdhsa_round_robin_scheduling 0
		.amdhsa_exception_fp_ieee_invalid_op 0
		.amdhsa_exception_fp_denorm_src 0
		.amdhsa_exception_fp_ieee_div_zero 0
		.amdhsa_exception_fp_ieee_overflow 0
		.amdhsa_exception_fp_ieee_underflow 0
		.amdhsa_exception_fp_ieee_inexact 0
		.amdhsa_exception_int_div_zero 0
	.end_amdhsa_kernel
	.section	.text._ZL20rocblas_gbmvn_kernelILi64ELi16E24rocblas_internal_val_ptrI19rocblas_complex_numIfEEPKS2_PS2_EvbiiiiT1_T2_lllS8_lllS7_T3_llli,"axG",@progbits,_ZL20rocblas_gbmvn_kernelILi64ELi16E24rocblas_internal_val_ptrI19rocblas_complex_numIfEEPKS2_PS2_EvbiiiiT1_T2_lllS8_lllS7_T3_llli,comdat
.Lfunc_end21:
	.size	_ZL20rocblas_gbmvn_kernelILi64ELi16E24rocblas_internal_val_ptrI19rocblas_complex_numIfEEPKS2_PS2_EvbiiiiT1_T2_lllS8_lllS7_T3_llli, .Lfunc_end21-_ZL20rocblas_gbmvn_kernelILi64ELi16E24rocblas_internal_val_ptrI19rocblas_complex_numIfEEPKS2_PS2_EvbiiiiT1_T2_lllS8_lllS7_T3_llli
                                        ; -- End function
	.set _ZL20rocblas_gbmvn_kernelILi64ELi16E24rocblas_internal_val_ptrI19rocblas_complex_numIfEEPKS2_PS2_EvbiiiiT1_T2_lllS8_lllS7_T3_llli.num_vgpr, 27
	.set _ZL20rocblas_gbmvn_kernelILi64ELi16E24rocblas_internal_val_ptrI19rocblas_complex_numIfEEPKS2_PS2_EvbiiiiT1_T2_lllS8_lllS7_T3_llli.num_agpr, 0
	.set _ZL20rocblas_gbmvn_kernelILi64ELi16E24rocblas_internal_val_ptrI19rocblas_complex_numIfEEPKS2_PS2_EvbiiiiT1_T2_lllS8_lllS7_T3_llli.numbered_sgpr, 43
	.set _ZL20rocblas_gbmvn_kernelILi64ELi16E24rocblas_internal_val_ptrI19rocblas_complex_numIfEEPKS2_PS2_EvbiiiiT1_T2_lllS8_lllS7_T3_llli.num_named_barrier, 0
	.set _ZL20rocblas_gbmvn_kernelILi64ELi16E24rocblas_internal_val_ptrI19rocblas_complex_numIfEEPKS2_PS2_EvbiiiiT1_T2_lllS8_lllS7_T3_llli.private_seg_size, 0
	.set _ZL20rocblas_gbmvn_kernelILi64ELi16E24rocblas_internal_val_ptrI19rocblas_complex_numIfEEPKS2_PS2_EvbiiiiT1_T2_lllS8_lllS7_T3_llli.uses_vcc, 1
	.set _ZL20rocblas_gbmvn_kernelILi64ELi16E24rocblas_internal_val_ptrI19rocblas_complex_numIfEEPKS2_PS2_EvbiiiiT1_T2_lllS8_lllS7_T3_llli.uses_flat_scratch, 0
	.set _ZL20rocblas_gbmvn_kernelILi64ELi16E24rocblas_internal_val_ptrI19rocblas_complex_numIfEEPKS2_PS2_EvbiiiiT1_T2_lllS8_lllS7_T3_llli.has_dyn_sized_stack, 0
	.set _ZL20rocblas_gbmvn_kernelILi64ELi16E24rocblas_internal_val_ptrI19rocblas_complex_numIfEEPKS2_PS2_EvbiiiiT1_T2_lllS8_lllS7_T3_llli.has_recursion, 0
	.set _ZL20rocblas_gbmvn_kernelILi64ELi16E24rocblas_internal_val_ptrI19rocblas_complex_numIfEEPKS2_PS2_EvbiiiiT1_T2_lllS8_lllS7_T3_llli.has_indirect_call, 0
	.section	.AMDGPU.csdata,"",@progbits
; Kernel info:
; codeLenInByte = 1268
; TotalNumSgprs: 45
; NumVgprs: 27
; ScratchSize: 0
; MemoryBound: 0
; FloatMode: 240
; IeeeMode: 1
; LDSByteSize: 0 bytes/workgroup (compile time only)
; SGPRBlocks: 0
; VGPRBlocks: 1
; NumSGPRsForWavesPerEU: 45
; NumVGPRsForWavesPerEU: 27
; NamedBarCnt: 0
; Occupancy: 16
; WaveLimiterHint : 0
; COMPUTE_PGM_RSRC2:SCRATCH_EN: 0
; COMPUTE_PGM_RSRC2:USER_SGPR: 2
; COMPUTE_PGM_RSRC2:TRAP_HANDLER: 0
; COMPUTE_PGM_RSRC2:TGID_X_EN: 1
; COMPUTE_PGM_RSRC2:TGID_Y_EN: 0
; COMPUTE_PGM_RSRC2:TGID_Z_EN: 1
; COMPUTE_PGM_RSRC2:TIDIG_COMP_CNT: 1
	.section	.text._ZL20rocblas_gbmvt_kernelILi32ELi32E24rocblas_internal_val_ptrI19rocblas_complex_numIfEEPKS2_PS2_Evb18rocblas_operation_iiiiT1_T2_lllS9_lllS8_T3_llli,"axG",@progbits,_ZL20rocblas_gbmvt_kernelILi32ELi32E24rocblas_internal_val_ptrI19rocblas_complex_numIfEEPKS2_PS2_Evb18rocblas_operation_iiiiT1_T2_lllS9_lllS8_T3_llli,comdat
	.globl	_ZL20rocblas_gbmvt_kernelILi32ELi32E24rocblas_internal_val_ptrI19rocblas_complex_numIfEEPKS2_PS2_Evb18rocblas_operation_iiiiT1_T2_lllS9_lllS8_T3_llli ; -- Begin function _ZL20rocblas_gbmvt_kernelILi32ELi32E24rocblas_internal_val_ptrI19rocblas_complex_numIfEEPKS2_PS2_Evb18rocblas_operation_iiiiT1_T2_lllS9_lllS8_T3_llli
	.p2align	8
	.type	_ZL20rocblas_gbmvt_kernelILi32ELi32E24rocblas_internal_val_ptrI19rocblas_complex_numIfEEPKS2_PS2_Evb18rocblas_operation_iiiiT1_T2_lllS9_lllS8_T3_llli,@function
_ZL20rocblas_gbmvt_kernelILi32ELi32E24rocblas_internal_val_ptrI19rocblas_complex_numIfEEPKS2_PS2_Evb18rocblas_operation_iiiiT1_T2_lllS9_lllS8_T3_llli: ; @_ZL20rocblas_gbmvt_kernelILi32ELi32E24rocblas_internal_val_ptrI19rocblas_complex_numIfEEPKS2_PS2_Evb18rocblas_operation_iiiiT1_T2_lllS9_lllS8_T3_llli
; %bb.0:
	s_load_b32 s33, s[0:1], 0x88
	s_bfe_u32 s2, ttmp6, 0x40014
	s_lshr_b32 s3, ttmp7, 16
	s_add_co_i32 s2, s2, 1
	s_bfe_u32 s5, ttmp6, 0x40008
	s_mul_i32 s4, s3, s2
	s_getreg_b32 s2, hwreg(HW_REG_IB_STS2, 6, 4)
	s_add_co_i32 s5, s5, s4
	s_cmp_eq_u32 s2, 0
	s_mov_b32 s35, 0
	s_cselect_b32 s34, s3, s5
	s_wait_kmcnt 0x0
	s_cmp_ge_u32 s34, s33
	s_cbranch_scc1 .LBB22_30
; %bb.1:
	s_clause 0x3
	s_load_b128 s[28:31], s[0:1], 0x0
	s_load_b256 s[20:27], s[0:1], 0x58
	s_load_b64 s[40:41], s[0:1], 0x10
	s_load_b512 s[4:19], s[0:1], 0x18
	v_bfe_u32 v1, v0, 10, 10
	v_and_b32_e32 v20, 0x3ff, v0
	s_load_b128 s[36:39], s[0:1], 0x78
	s_wait_kmcnt 0x0
	s_bitcmp1_b32 s28, 0
	s_cselect_b32 s3, -1, 0
	s_bfe_u32 s28, ttmp6, 0x4000c
	s_lshl_b64 s[42:43], s[26:27], 3
	s_add_co_i32 s28, s28, 1
	s_and_b32 s27, ttmp6, 15
	s_mul_i32 s28, ttmp9, s28
	s_xor_b32 s26, s3, -1
	s_add_co_i32 s27, s27, s28
	s_cmp_eq_u32 s2, 0
	v_sub_nc_u32_e32 v0, s41, v20
	s_cselect_b32 s2, ttmp9, s27
	s_cmp_lg_u32 s29, 0x71
	v_lshl_add_u32 v2, s2, 5, v1
	s_cselect_b32 s27, -1, 0
	s_lshl_b64 s[0:1], s[8:9], 3
	s_lshl_b64 s[2:3], s[16:17], 3
	s_add_nc_u64 s[8:9], s[24:25], s[42:43]
	v_ashrrev_i32_e32 v3, 31, v2
	s_add_nc_u64 s[2:3], s[14:15], s[2:3]
	s_add_co_i32 s14, s41, s40
	v_ashrrev_i32_e32 v1, 31, v0
	s_delay_alu instid0(VALU_DEP_2) | instskip(SKIP_2) | instid1(VALU_DEP_3)
	v_mul_u64_e32 v[6:7], s[10:11], v[2:3]
	v_mul_u64_e32 v[10:11], s[36:37], v[2:3]
	s_lshl_b64 s[10:11], s[18:19], 8
	v_sub_nc_u64_e32 v[4:5], v[2:3], v[0:1]
	v_mbcnt_lo_u32_b32 v1, -1, 0
	s_delay_alu instid0(VALU_DEP_2) | instskip(SKIP_4) | instid1(VALU_DEP_3)
	v_mul_u64_e32 v[8:9], s[18:19], v[4:5]
	v_dual_mov_b32 v5, 0 :: v_dual_lshlrev_b32 v4, 3, v20
	v_lshl_add_u64 v[6:7], v[6:7], 3, s[0:1]
	v_cmp_eq_u32_e64 s0, 0, v20
	v_cmp_ge_i32_e64 s1, s14, v20
	v_add_nc_u64_e32 v[6:7], v[6:7], v[4:5]
	v_lshl_add_u64 v[14:15], v[8:9], 3, s[2:3]
	v_cmp_gt_i32_e64 s2, s31, v2
	s_delay_alu instid0(VALU_DEP_3) | instskip(SKIP_4) | instid1(VALU_DEP_3)
	v_add_nc_u64_e32 v[12:13], s[6:7], v[6:7]
	v_lshl_add_u64 v[6:7], v[10:11], 3, s[8:9]
	s_lshl_b64 s[6:7], s[12:13], 3
	s_lshl_b64 s[8:9], s[20:21], 3
	v_add_nc_u64_e32 v[10:11], 4, v[14:15]
	v_add_nc_u64_e32 v[8:9], 4, v[12:13]
	s_branch .LBB22_5
.LBB22_2:                               ;   in Loop: Header=BB22_5 Depth=1
	global_store_b64 v[14:15], v[12:13], off
.LBB22_3:                               ;   in Loop: Header=BB22_5 Depth=1
	s_wait_xcnt 0x0
	s_or_b32 exec_lo, exec_lo, s15
.LBB22_4:                               ;   in Loop: Header=BB22_5 Depth=1
	s_add_co_i32 s34, s34, 0x10000
	s_delay_alu instid0(SALU_CYCLE_1)
	s_cmp_lt_u32 s34, s33
	s_cbranch_scc0 .LBB22_30
.LBB22_5:                               ; =>This Loop Header: Depth=1
                                        ;     Child Loop BB22_19 Depth 2
	v_mov_b64_e32 v[12:13], s[4:5]
	s_and_not1_b32 vcc_lo, exec_lo, s26
	s_cbranch_vccnz .LBB22_7
; %bb.6:                                ;   in Loop: Header=BB22_5 Depth=1
	global_load_b64 v[12:13], v5, s[4:5]
.LBB22_7:                               ;   in Loop: Header=BB22_5 Depth=1
	s_and_not1_b32 vcc_lo, exec_lo, s26
	s_mov_b64 s[12:13], s[22:23]
	s_cbranch_vccnz .LBB22_9
; %bb.8:                                ;   in Loop: Header=BB22_5 Depth=1
	global_load_b64 v[14:15], v5, s[22:23]
	s_wait_loadcnt 0x0
	v_readfirstlane_b32 s12, v14
	v_readfirstlane_b32 s13, v15
.LBB22_9:                               ;   in Loop: Header=BB22_5 Depth=1
	s_wait_loadcnt 0x0
	v_cmp_neq_f32_e32 vcc_lo, 0, v12
	v_cmp_neq_f32_e64 s3, 0, v13
	s_mov_b32 s15, -1
	s_or_b32 s3, vcc_lo, s3
	s_delay_alu instid0(SALU_CYCLE_1)
	s_and_b32 vcc_lo, exec_lo, s3
	s_cbranch_vccz .LBB22_11
; %bb.10:                               ;   in Loop: Header=BB22_5 Depth=1
	s_and_not1_b32 vcc_lo, exec_lo, s15
	s_cbranch_vccnz .LBB22_4
	s_branch .LBB22_12
.LBB22_11:                              ;   in Loop: Header=BB22_5 Depth=1
	s_cmp_neq_f32 s12, 1.0
	s_cselect_b32 s15, -1, 0
	s_and_b32 s16, s13, 0x7fffffff
	s_delay_alu instid0(SALU_CYCLE_1) | instskip(SKIP_1) | instid1(SALU_CYCLE_1)
	s_cmp_lg_u32 s16, 0
	s_cselect_b32 s16, -1, 0
	s_or_b32 s15, s15, s16
	s_delay_alu instid0(SALU_CYCLE_1)
	s_and_not1_b32 vcc_lo, exec_lo, s15
	s_cbranch_vccnz .LBB22_4
.LBB22_12:                              ;   in Loop: Header=BB22_5 Depth=1
	s_wait_xcnt 0x0
	s_and_saveexec_b32 s15, s2
	s_cbranch_execz .LBB22_3
; %bb.13:                               ;   in Loop: Header=BB22_5 Depth=1
	s_and_not1_b32 vcc_lo, exec_lo, s3
	s_cbranch_vccnz .LBB22_25
; %bb.14:                               ;   in Loop: Header=BB22_5 Depth=1
	v_dual_mov_b32 v3, 0 :: v_dual_mov_b32 v4, 0
	s_and_saveexec_b32 s16, s1
	s_cbranch_execz .LBB22_27
; %bb.15:                               ;   in Loop: Header=BB22_5 Depth=1
	v_mad_nc_u64_u32 v[14:15], s6, s34, v[8:9]
	v_mad_nc_u64_u32 v[16:17], s8, s34, v[10:11]
	v_dual_mov_b32 v3, 0 :: v_dual_mov_b32 v21, v0
	v_dual_mov_b32 v22, v20 :: v_dual_mov_b32 v4, 0
	s_mov_b32 s17, 0
	s_delay_alu instid0(VALU_DEP_4) | instskip(NEXT) | instid1(VALU_DEP_4)
	v_mad_u32 v15, s7, s34, v15
	v_mad_u32 v17, s9, s34, v17
	s_branch .LBB22_19
.LBB22_16:                              ;   in Loop: Header=BB22_19 Depth=2
	global_load_b64 v[24:25], v[16:17], off offset:-4
	s_wait_loadcnt 0x0
	v_dual_mul_f32 v23, v19, v25 :: v_dual_mul_f32 v25, v25, v18
	s_delay_alu instid0(VALU_DEP_1) | instskip(NEXT) | instid1(VALU_DEP_1)
	v_dual_fma_f32 v18, v24, v18, -v23 :: v_dual_fmac_f32 v25, v19, v24
	v_dual_add_f32 v4, v4, v18 :: v_dual_add_f32 v3, v3, v25
.LBB22_17:                              ;   in Loop: Header=BB22_19 Depth=2
	s_wait_xcnt 0x0
	s_or_b32 exec_lo, exec_lo, s3
.LBB22_18:                              ;   in Loop: Header=BB22_19 Depth=2
	s_delay_alu instid0(SALU_CYCLE_1) | instskip(SKIP_4) | instid1(VALU_DEP_4)
	s_or_b32 exec_lo, exec_lo, s18
	v_add_nc_u32_e32 v22, 32, v22
	v_add_nc_u64_e32 v[14:15], 0x100, v[14:15]
	v_add_nc_u64_e32 v[16:17], s[10:11], v[16:17]
	v_subrev_nc_u32_e32 v21, 32, v21
	v_cmp_lt_i32_e32 vcc_lo, s14, v22
	s_or_b32 s17, vcc_lo, s17
	s_delay_alu instid0(SALU_CYCLE_1)
	s_and_not1_b32 exec_lo, exec_lo, s17
	s_cbranch_execz .LBB22_26
.LBB22_19:                              ;   Parent Loop BB22_5 Depth=1
                                        ; =>  This Inner Loop Header: Depth=2
	v_add_nc_u32_e32 v18, s30, v21
	s_mov_b32 s18, exec_lo
	s_delay_alu instid0(VALU_DEP_1)
	v_cmpx_lt_i32_e64 v2, v18
	s_cbranch_execz .LBB22_18
; %bb.20:                               ;   in Loop: Header=BB22_19 Depth=2
	v_cmp_lt_i32_e32 vcc_lo, s41, v22
	v_cmp_ge_i32_e64 s3, v2, v21
	s_or_b32 s19, vcc_lo, s3
	s_delay_alu instid0(SALU_CYCLE_1)
	s_and_saveexec_b32 s3, s19
	s_cbranch_execz .LBB22_17
; %bb.21:                               ;   in Loop: Header=BB22_19 Depth=2
	s_and_b32 vcc_lo, exec_lo, s27
	s_mov_b32 s19, -1
                                        ; implicit-def: $vgpr19
	s_cbranch_vccz .LBB22_23
; %bb.22:                               ;   in Loop: Header=BB22_19 Depth=2
	global_load_b64 v[18:19], v[14:15], off offset:-4
	s_mov_b32 s19, 0
.LBB22_23:                              ;   in Loop: Header=BB22_19 Depth=2
	s_delay_alu instid0(SALU_CYCLE_1)
	s_and_not1_b32 vcc_lo, exec_lo, s19
	s_cbranch_vccnz .LBB22_16
; %bb.24:                               ;   in Loop: Header=BB22_19 Depth=2
	s_wait_loadcnt 0x0
	global_load_b64 v[18:19], v[14:15], off offset:-4
	s_wait_loadcnt 0x0
	v_xor_b32_e32 v19, 0x80000000, v19
	s_branch .LBB22_16
.LBB22_25:                              ;   in Loop: Header=BB22_5 Depth=1
	v_mov_b64_e32 v[12:13], 0
	s_and_b32 exec_lo, exec_lo, s0
	s_cbranch_execz .LBB22_3
	s_branch .LBB22_28
.LBB22_26:                              ;   in Loop: Header=BB22_5 Depth=1
	s_or_b32 exec_lo, exec_lo, s17
.LBB22_27:                              ;   in Loop: Header=BB22_5 Depth=1
	s_delay_alu instid0(SALU_CYCLE_1)
	s_or_b32 exec_lo, exec_lo, s16
	v_lshl_or_b32 v14, v1, 2, 64
	v_cmp_gt_u32_e32 vcc_lo, 24, v1
	s_barrier_signal -1
	s_barrier_wait -1
	ds_bpermute_b32 v15, v14, v3
	ds_bpermute_b32 v14, v14, v4
	v_cndmask_b32_e64 v16, 0, 8, vcc_lo
	v_cmp_gt_u32_e32 vcc_lo, 28, v1
	s_wait_dscnt 0x0
	s_delay_alu instid0(VALU_DEP_2)
	v_add_lshl_u32 v16, v16, v1, 2
	v_dual_add_f32 v3, v3, v15 :: v_dual_add_f32 v4, v4, v14
	ds_bpermute_b32 v14, v16, v3
	ds_bpermute_b32 v15, v16, v4
	v_cndmask_b32_e64 v16, 0, 4, vcc_lo
	v_cmp_gt_u32_e32 vcc_lo, 30, v1
	s_delay_alu instid0(VALU_DEP_2)
	v_add_lshl_u32 v16, v16, v1, 2
	s_wait_dscnt 0x0
	v_dual_add_f32 v3, v3, v14 :: v_dual_add_f32 v4, v4, v15
	ds_bpermute_b32 v14, v16, v3
	ds_bpermute_b32 v15, v16, v4
	v_cndmask_b32_e64 v16, 0, 2, vcc_lo
	v_cmp_ne_u32_e32 vcc_lo, 31, v1
	s_delay_alu instid0(VALU_DEP_2)
	v_add_lshl_u32 v16, v16, v1, 2
	s_wait_dscnt 0x0
	v_dual_add_f32 v3, v3, v14 :: v_dual_add_f32 v4, v4, v15
	ds_bpermute_b32 v14, v16, v3
	ds_bpermute_b32 v15, v16, v4
	v_add_co_ci_u32_e64 v16, null, 0, v1, vcc_lo
	s_wait_dscnt 0x1
	s_delay_alu instid0(VALU_DEP_1)
	v_dual_add_f32 v3, v3, v14 :: v_dual_lshlrev_b32 v14, 2, v16
	s_wait_dscnt 0x0
	v_add_f32_e32 v15, v4, v15
	ds_bpermute_b32 v4, v14, v3
	s_wait_dscnt 0x0
	v_add_f32_e32 v4, v3, v4
	ds_bpermute_b32 v14, v14, v15
	v_pk_mul_f32 v[16:17], v[12:13], v[4:5] op_sel:[1,0] op_sel_hi:[0,0]
	s_wait_dscnt 0x0
	v_add_f32_e32 v14, v15, v14
	s_delay_alu instid0(VALU_DEP_1) | instskip(SKIP_1) | instid1(VALU_DEP_2)
	v_pk_fma_f32 v[18:19], v[12:13], v[14:15], v[16:17] op_sel_hi:[1,0,1]
	v_pk_fma_f32 v[12:13], v[12:13], v[14:15], v[16:17] neg_lo:[0,0,1] neg_hi:[0,0,1]
	v_mov_b32_e32 v13, v19
	s_and_b32 exec_lo, exec_lo, s0
	s_cbranch_execz .LBB22_3
.LBB22_28:                              ;   in Loop: Header=BB22_5 Depth=1
	s_mul_u64 s[16:17], s[38:39], s[34:35]
	s_or_b32 s3, s12, s13
	v_lshl_add_u64 v[14:15], s[16:17], 3, v[6:7]
	s_bitset0_b32 s3, 31
	s_delay_alu instid0(SALU_CYCLE_1)
	s_cmp_eq_u32 s3, 0
	s_cbranch_scc1 .LBB22_2
; %bb.29:                               ;   in Loop: Header=BB22_5 Depth=1
	global_load_b64 v[16:17], v[14:15], off
	v_mov_b64_e32 v[18:19], s[12:13]
	s_wait_loadcnt 0x0
	s_delay_alu instid0(VALU_DEP_1) | instskip(NEXT) | instid1(VALU_DEP_1)
	v_pk_mul_f32 v[22:23], v[16:17], v[18:19] op_sel:[1,1] op_sel_hi:[0,1]
	v_pk_fma_f32 v[24:25], v[16:17], s[12:13], v[22:23] op_sel_hi:[1,0,1]
	v_pk_fma_f32 v[16:17], v[16:17], v[18:19], v[22:23] neg_lo:[0,0,1] neg_hi:[0,0,1]
	s_delay_alu instid0(VALU_DEP_2) | instskip(NEXT) | instid1(VALU_DEP_1)
	v_mov_b32_e32 v17, v25
	v_pk_add_f32 v[12:13], v[12:13], v[16:17]
	s_branch .LBB22_2
.LBB22_30:
	s_endpgm
	.section	.rodata,"a",@progbits
	.p2align	6, 0x0
	.amdhsa_kernel _ZL20rocblas_gbmvt_kernelILi32ELi32E24rocblas_internal_val_ptrI19rocblas_complex_numIfEEPKS2_PS2_Evb18rocblas_operation_iiiiT1_T2_lllS9_lllS8_T3_llli
		.amdhsa_group_segment_fixed_size 0
		.amdhsa_private_segment_fixed_size 0
		.amdhsa_kernarg_size 140
		.amdhsa_user_sgpr_count 2
		.amdhsa_user_sgpr_dispatch_ptr 0
		.amdhsa_user_sgpr_queue_ptr 0
		.amdhsa_user_sgpr_kernarg_segment_ptr 1
		.amdhsa_user_sgpr_dispatch_id 0
		.amdhsa_user_sgpr_kernarg_preload_length 0
		.amdhsa_user_sgpr_kernarg_preload_offset 0
		.amdhsa_user_sgpr_private_segment_size 0
		.amdhsa_wavefront_size32 1
		.amdhsa_uses_dynamic_stack 0
		.amdhsa_enable_private_segment 0
		.amdhsa_system_sgpr_workgroup_id_x 1
		.amdhsa_system_sgpr_workgroup_id_y 0
		.amdhsa_system_sgpr_workgroup_id_z 1
		.amdhsa_system_sgpr_workgroup_info 0
		.amdhsa_system_vgpr_workitem_id 1
		.amdhsa_next_free_vgpr 26
		.amdhsa_next_free_sgpr 44
		.amdhsa_named_barrier_count 0
		.amdhsa_reserve_vcc 1
		.amdhsa_float_round_mode_32 0
		.amdhsa_float_round_mode_16_64 0
		.amdhsa_float_denorm_mode_32 3
		.amdhsa_float_denorm_mode_16_64 3
		.amdhsa_fp16_overflow 0
		.amdhsa_memory_ordered 1
		.amdhsa_forward_progress 1
		.amdhsa_inst_pref_size 11
		.amdhsa_round_robin_scheduling 0
		.amdhsa_exception_fp_ieee_invalid_op 0
		.amdhsa_exception_fp_denorm_src 0
		.amdhsa_exception_fp_ieee_div_zero 0
		.amdhsa_exception_fp_ieee_overflow 0
		.amdhsa_exception_fp_ieee_underflow 0
		.amdhsa_exception_fp_ieee_inexact 0
		.amdhsa_exception_int_div_zero 0
	.end_amdhsa_kernel
	.section	.text._ZL20rocblas_gbmvt_kernelILi32ELi32E24rocblas_internal_val_ptrI19rocblas_complex_numIfEEPKS2_PS2_Evb18rocblas_operation_iiiiT1_T2_lllS9_lllS8_T3_llli,"axG",@progbits,_ZL20rocblas_gbmvt_kernelILi32ELi32E24rocblas_internal_val_ptrI19rocblas_complex_numIfEEPKS2_PS2_Evb18rocblas_operation_iiiiT1_T2_lllS9_lllS8_T3_llli,comdat
.Lfunc_end22:
	.size	_ZL20rocblas_gbmvt_kernelILi32ELi32E24rocblas_internal_val_ptrI19rocblas_complex_numIfEEPKS2_PS2_Evb18rocblas_operation_iiiiT1_T2_lllS9_lllS8_T3_llli, .Lfunc_end22-_ZL20rocblas_gbmvt_kernelILi32ELi32E24rocblas_internal_val_ptrI19rocblas_complex_numIfEEPKS2_PS2_Evb18rocblas_operation_iiiiT1_T2_lllS9_lllS8_T3_llli
                                        ; -- End function
	.set _ZL20rocblas_gbmvt_kernelILi32ELi32E24rocblas_internal_val_ptrI19rocblas_complex_numIfEEPKS2_PS2_Evb18rocblas_operation_iiiiT1_T2_lllS9_lllS8_T3_llli.num_vgpr, 26
	.set _ZL20rocblas_gbmvt_kernelILi32ELi32E24rocblas_internal_val_ptrI19rocblas_complex_numIfEEPKS2_PS2_Evb18rocblas_operation_iiiiT1_T2_lllS9_lllS8_T3_llli.num_agpr, 0
	.set _ZL20rocblas_gbmvt_kernelILi32ELi32E24rocblas_internal_val_ptrI19rocblas_complex_numIfEEPKS2_PS2_Evb18rocblas_operation_iiiiT1_T2_lllS9_lllS8_T3_llli.numbered_sgpr, 44
	.set _ZL20rocblas_gbmvt_kernelILi32ELi32E24rocblas_internal_val_ptrI19rocblas_complex_numIfEEPKS2_PS2_Evb18rocblas_operation_iiiiT1_T2_lllS9_lllS8_T3_llli.num_named_barrier, 0
	.set _ZL20rocblas_gbmvt_kernelILi32ELi32E24rocblas_internal_val_ptrI19rocblas_complex_numIfEEPKS2_PS2_Evb18rocblas_operation_iiiiT1_T2_lllS9_lllS8_T3_llli.private_seg_size, 0
	.set _ZL20rocblas_gbmvt_kernelILi32ELi32E24rocblas_internal_val_ptrI19rocblas_complex_numIfEEPKS2_PS2_Evb18rocblas_operation_iiiiT1_T2_lllS9_lllS8_T3_llli.uses_vcc, 1
	.set _ZL20rocblas_gbmvt_kernelILi32ELi32E24rocblas_internal_val_ptrI19rocblas_complex_numIfEEPKS2_PS2_Evb18rocblas_operation_iiiiT1_T2_lllS9_lllS8_T3_llli.uses_flat_scratch, 0
	.set _ZL20rocblas_gbmvt_kernelILi32ELi32E24rocblas_internal_val_ptrI19rocblas_complex_numIfEEPKS2_PS2_Evb18rocblas_operation_iiiiT1_T2_lllS9_lllS8_T3_llli.has_dyn_sized_stack, 0
	.set _ZL20rocblas_gbmvt_kernelILi32ELi32E24rocblas_internal_val_ptrI19rocblas_complex_numIfEEPKS2_PS2_Evb18rocblas_operation_iiiiT1_T2_lllS9_lllS8_T3_llli.has_recursion, 0
	.set _ZL20rocblas_gbmvt_kernelILi32ELi32E24rocblas_internal_val_ptrI19rocblas_complex_numIfEEPKS2_PS2_Evb18rocblas_operation_iiiiT1_T2_lllS9_lllS8_T3_llli.has_indirect_call, 0
	.section	.AMDGPU.csdata,"",@progbits
; Kernel info:
; codeLenInByte = 1312
; TotalNumSgprs: 46
; NumVgprs: 26
; ScratchSize: 0
; MemoryBound: 0
; FloatMode: 240
; IeeeMode: 1
; LDSByteSize: 0 bytes/workgroup (compile time only)
; SGPRBlocks: 0
; VGPRBlocks: 1
; NumSGPRsForWavesPerEU: 46
; NumVGPRsForWavesPerEU: 26
; NamedBarCnt: 0
; Occupancy: 16
; WaveLimiterHint : 0
; COMPUTE_PGM_RSRC2:SCRATCH_EN: 0
; COMPUTE_PGM_RSRC2:USER_SGPR: 2
; COMPUTE_PGM_RSRC2:TRAP_HANDLER: 0
; COMPUTE_PGM_RSRC2:TGID_X_EN: 1
; COMPUTE_PGM_RSRC2:TGID_Y_EN: 0
; COMPUTE_PGM_RSRC2:TGID_Z_EN: 1
; COMPUTE_PGM_RSRC2:TIDIG_COMP_CNT: 1
	.section	.text._ZL20rocblas_gbmvt_kernelILi64ELi16E24rocblas_internal_val_ptrI19rocblas_complex_numIfEEPKS2_PS2_Evb18rocblas_operation_iiiiT1_T2_lllS9_lllS8_T3_llli,"axG",@progbits,_ZL20rocblas_gbmvt_kernelILi64ELi16E24rocblas_internal_val_ptrI19rocblas_complex_numIfEEPKS2_PS2_Evb18rocblas_operation_iiiiT1_T2_lllS9_lllS8_T3_llli,comdat
	.globl	_ZL20rocblas_gbmvt_kernelILi64ELi16E24rocblas_internal_val_ptrI19rocblas_complex_numIfEEPKS2_PS2_Evb18rocblas_operation_iiiiT1_T2_lllS9_lllS8_T3_llli ; -- Begin function _ZL20rocblas_gbmvt_kernelILi64ELi16E24rocblas_internal_val_ptrI19rocblas_complex_numIfEEPKS2_PS2_Evb18rocblas_operation_iiiiT1_T2_lllS9_lllS8_T3_llli
	.p2align	8
	.type	_ZL20rocblas_gbmvt_kernelILi64ELi16E24rocblas_internal_val_ptrI19rocblas_complex_numIfEEPKS2_PS2_Evb18rocblas_operation_iiiiT1_T2_lllS9_lllS8_T3_llli,@function
_ZL20rocblas_gbmvt_kernelILi64ELi16E24rocblas_internal_val_ptrI19rocblas_complex_numIfEEPKS2_PS2_Evb18rocblas_operation_iiiiT1_T2_lllS9_lllS8_T3_llli: ; @_ZL20rocblas_gbmvt_kernelILi64ELi16E24rocblas_internal_val_ptrI19rocblas_complex_numIfEEPKS2_PS2_Evb18rocblas_operation_iiiiT1_T2_lllS9_lllS8_T3_llli
; %bb.0:
	s_load_b32 s33, s[0:1], 0x88
	s_bfe_u32 s2, ttmp6, 0x40014
	s_lshr_b32 s3, ttmp7, 16
	s_add_co_i32 s2, s2, 1
	s_bfe_u32 s5, ttmp6, 0x40008
	s_mul_i32 s4, s3, s2
	s_getreg_b32 s2, hwreg(HW_REG_IB_STS2, 6, 4)
	s_add_co_i32 s5, s5, s4
	s_cmp_eq_u32 s2, 0
	s_mov_b32 s35, 0
	s_cselect_b32 s34, s3, s5
	s_wait_kmcnt 0x0
	s_cmp_ge_u32 s34, s33
	s_cbranch_scc1 .LBB23_30
; %bb.1:
	s_clause 0x3
	s_load_b128 s[28:31], s[0:1], 0x0
	s_load_b256 s[20:27], s[0:1], 0x58
	s_load_b64 s[40:41], s[0:1], 0x10
	s_load_b512 s[4:19], s[0:1], 0x18
	v_bfe_u32 v1, v0, 10, 10
	v_and_b32_e32 v20, 0x3ff, v0
	s_load_b128 s[36:39], s[0:1], 0x78
	s_wait_kmcnt 0x0
	s_bitcmp1_b32 s28, 0
	s_cselect_b32 s3, -1, 0
	s_bfe_u32 s28, ttmp6, 0x4000c
	s_lshl_b64 s[42:43], s[26:27], 3
	s_add_co_i32 s28, s28, 1
	s_and_b32 s27, ttmp6, 15
	s_mul_i32 s28, ttmp9, s28
	s_xor_b32 s26, s3, -1
	s_add_co_i32 s27, s27, s28
	s_cmp_eq_u32 s2, 0
	v_sub_nc_u32_e32 v0, s41, v20
	s_cselect_b32 s2, ttmp9, s27
	s_cmp_lg_u32 s29, 0x71
	v_lshl_add_u32 v2, s2, 4, v1
	s_cselect_b32 s27, -1, 0
	s_lshl_b64 s[0:1], s[8:9], 3
	s_lshl_b64 s[2:3], s[16:17], 3
	s_add_nc_u64 s[8:9], s[24:25], s[42:43]
	v_ashrrev_i32_e32 v3, 31, v2
	s_add_nc_u64 s[2:3], s[14:15], s[2:3]
	s_add_co_i32 s14, s41, s40
	v_ashrrev_i32_e32 v1, 31, v0
	s_delay_alu instid0(VALU_DEP_2) | instskip(SKIP_2) | instid1(VALU_DEP_3)
	v_mul_u64_e32 v[6:7], s[10:11], v[2:3]
	v_mul_u64_e32 v[10:11], s[36:37], v[2:3]
	s_lshl_b64 s[10:11], s[18:19], 9
	v_sub_nc_u64_e32 v[4:5], v[2:3], v[0:1]
	v_mbcnt_lo_u32_b32 v1, -1, 0
	s_delay_alu instid0(VALU_DEP_2) | instskip(SKIP_4) | instid1(VALU_DEP_3)
	v_mul_u64_e32 v[8:9], s[18:19], v[4:5]
	v_dual_mov_b32 v5, 0 :: v_dual_lshlrev_b32 v4, 3, v20
	v_lshl_add_u64 v[6:7], v[6:7], 3, s[0:1]
	v_cmp_eq_u32_e64 s0, 0, v20
	v_cmp_ge_i32_e64 s1, s14, v20
	v_add_nc_u64_e32 v[6:7], v[6:7], v[4:5]
	v_lshl_add_u64 v[14:15], v[8:9], 3, s[2:3]
	v_cmp_gt_i32_e64 s2, s31, v2
	s_delay_alu instid0(VALU_DEP_3) | instskip(SKIP_4) | instid1(VALU_DEP_3)
	v_add_nc_u64_e32 v[12:13], s[6:7], v[6:7]
	v_lshl_add_u64 v[6:7], v[10:11], 3, s[8:9]
	s_lshl_b64 s[6:7], s[12:13], 3
	s_lshl_b64 s[8:9], s[20:21], 3
	v_add_nc_u64_e32 v[10:11], 4, v[14:15]
	v_add_nc_u64_e32 v[8:9], 4, v[12:13]
	s_branch .LBB23_5
.LBB23_2:                               ;   in Loop: Header=BB23_5 Depth=1
	global_store_b64 v[14:15], v[12:13], off
.LBB23_3:                               ;   in Loop: Header=BB23_5 Depth=1
	s_wait_xcnt 0x0
	s_or_b32 exec_lo, exec_lo, s15
.LBB23_4:                               ;   in Loop: Header=BB23_5 Depth=1
	s_add_co_i32 s34, s34, 0x10000
	s_delay_alu instid0(SALU_CYCLE_1)
	s_cmp_lt_u32 s34, s33
	s_cbranch_scc0 .LBB23_30
.LBB23_5:                               ; =>This Loop Header: Depth=1
                                        ;     Child Loop BB23_19 Depth 2
	v_mov_b64_e32 v[12:13], s[4:5]
	s_and_not1_b32 vcc_lo, exec_lo, s26
	s_cbranch_vccnz .LBB23_7
; %bb.6:                                ;   in Loop: Header=BB23_5 Depth=1
	global_load_b64 v[12:13], v5, s[4:5]
.LBB23_7:                               ;   in Loop: Header=BB23_5 Depth=1
	s_and_not1_b32 vcc_lo, exec_lo, s26
	s_mov_b64 s[12:13], s[22:23]
	s_cbranch_vccnz .LBB23_9
; %bb.8:                                ;   in Loop: Header=BB23_5 Depth=1
	global_load_b64 v[14:15], v5, s[22:23]
	s_wait_loadcnt 0x0
	v_readfirstlane_b32 s12, v14
	v_readfirstlane_b32 s13, v15
.LBB23_9:                               ;   in Loop: Header=BB23_5 Depth=1
	s_wait_loadcnt 0x0
	v_cmp_neq_f32_e32 vcc_lo, 0, v12
	v_cmp_neq_f32_e64 s3, 0, v13
	s_mov_b32 s15, -1
	s_or_b32 s3, vcc_lo, s3
	s_delay_alu instid0(SALU_CYCLE_1)
	s_and_b32 vcc_lo, exec_lo, s3
	s_cbranch_vccz .LBB23_11
; %bb.10:                               ;   in Loop: Header=BB23_5 Depth=1
	s_and_not1_b32 vcc_lo, exec_lo, s15
	s_cbranch_vccnz .LBB23_4
	s_branch .LBB23_12
.LBB23_11:                              ;   in Loop: Header=BB23_5 Depth=1
	s_cmp_neq_f32 s12, 1.0
	s_cselect_b32 s15, -1, 0
	s_and_b32 s16, s13, 0x7fffffff
	s_delay_alu instid0(SALU_CYCLE_1) | instskip(SKIP_1) | instid1(SALU_CYCLE_1)
	s_cmp_lg_u32 s16, 0
	s_cselect_b32 s16, -1, 0
	s_or_b32 s15, s15, s16
	s_delay_alu instid0(SALU_CYCLE_1)
	s_and_not1_b32 vcc_lo, exec_lo, s15
	s_cbranch_vccnz .LBB23_4
.LBB23_12:                              ;   in Loop: Header=BB23_5 Depth=1
	s_wait_xcnt 0x0
	s_and_saveexec_b32 s15, s2
	s_cbranch_execz .LBB23_3
; %bb.13:                               ;   in Loop: Header=BB23_5 Depth=1
	s_and_not1_b32 vcc_lo, exec_lo, s3
	s_cbranch_vccnz .LBB23_25
; %bb.14:                               ;   in Loop: Header=BB23_5 Depth=1
	v_dual_mov_b32 v3, 0 :: v_dual_mov_b32 v4, 0
	s_and_saveexec_b32 s16, s1
	s_cbranch_execz .LBB23_27
; %bb.15:                               ;   in Loop: Header=BB23_5 Depth=1
	v_mad_nc_u64_u32 v[14:15], s6, s34, v[8:9]
	v_mad_nc_u64_u32 v[16:17], s8, s34, v[10:11]
	v_dual_mov_b32 v3, 0 :: v_dual_mov_b32 v21, v0
	v_dual_mov_b32 v22, v20 :: v_dual_mov_b32 v4, 0
	s_mov_b32 s17, 0
	s_delay_alu instid0(VALU_DEP_4) | instskip(NEXT) | instid1(VALU_DEP_4)
	v_mad_u32 v15, s7, s34, v15
	v_mad_u32 v17, s9, s34, v17
	s_branch .LBB23_19
.LBB23_16:                              ;   in Loop: Header=BB23_19 Depth=2
	global_load_b64 v[24:25], v[16:17], off offset:-4
	s_wait_loadcnt 0x0
	v_dual_mul_f32 v23, v19, v25 :: v_dual_mul_f32 v25, v25, v18
	s_delay_alu instid0(VALU_DEP_1) | instskip(NEXT) | instid1(VALU_DEP_1)
	v_dual_fma_f32 v18, v24, v18, -v23 :: v_dual_fmac_f32 v25, v19, v24
	v_dual_add_f32 v4, v4, v18 :: v_dual_add_f32 v3, v3, v25
.LBB23_17:                              ;   in Loop: Header=BB23_19 Depth=2
	s_wait_xcnt 0x0
	s_or_b32 exec_lo, exec_lo, s3
.LBB23_18:                              ;   in Loop: Header=BB23_19 Depth=2
	s_delay_alu instid0(SALU_CYCLE_1) | instskip(SKIP_4) | instid1(VALU_DEP_4)
	s_or_b32 exec_lo, exec_lo, s18
	v_add_nc_u32_e32 v22, 64, v22
	v_add_nc_u64_e32 v[14:15], 0x200, v[14:15]
	v_add_nc_u64_e32 v[16:17], s[10:11], v[16:17]
	v_subrev_nc_u32_e32 v21, 64, v21
	v_cmp_lt_i32_e32 vcc_lo, s14, v22
	s_or_b32 s17, vcc_lo, s17
	s_delay_alu instid0(SALU_CYCLE_1)
	s_and_not1_b32 exec_lo, exec_lo, s17
	s_cbranch_execz .LBB23_26
.LBB23_19:                              ;   Parent Loop BB23_5 Depth=1
                                        ; =>  This Inner Loop Header: Depth=2
	v_add_nc_u32_e32 v18, s30, v21
	s_mov_b32 s18, exec_lo
	s_delay_alu instid0(VALU_DEP_1)
	v_cmpx_lt_i32_e64 v2, v18
	s_cbranch_execz .LBB23_18
; %bb.20:                               ;   in Loop: Header=BB23_19 Depth=2
	v_cmp_lt_i32_e32 vcc_lo, s41, v22
	v_cmp_ge_i32_e64 s3, v2, v21
	s_or_b32 s19, vcc_lo, s3
	s_delay_alu instid0(SALU_CYCLE_1)
	s_and_saveexec_b32 s3, s19
	s_cbranch_execz .LBB23_17
; %bb.21:                               ;   in Loop: Header=BB23_19 Depth=2
	s_and_b32 vcc_lo, exec_lo, s27
	s_mov_b32 s19, -1
                                        ; implicit-def: $vgpr19
	s_cbranch_vccz .LBB23_23
; %bb.22:                               ;   in Loop: Header=BB23_19 Depth=2
	global_load_b64 v[18:19], v[14:15], off offset:-4
	s_mov_b32 s19, 0
.LBB23_23:                              ;   in Loop: Header=BB23_19 Depth=2
	s_delay_alu instid0(SALU_CYCLE_1)
	s_and_not1_b32 vcc_lo, exec_lo, s19
	s_cbranch_vccnz .LBB23_16
; %bb.24:                               ;   in Loop: Header=BB23_19 Depth=2
	s_wait_loadcnt 0x0
	global_load_b64 v[18:19], v[14:15], off offset:-4
	s_wait_loadcnt 0x0
	v_xor_b32_e32 v19, 0x80000000, v19
	s_branch .LBB23_16
.LBB23_25:                              ;   in Loop: Header=BB23_5 Depth=1
	v_mov_b64_e32 v[12:13], 0
	s_and_b32 exec_lo, exec_lo, s0
	s_cbranch_execz .LBB23_3
	s_branch .LBB23_28
.LBB23_26:                              ;   in Loop: Header=BB23_5 Depth=1
	s_or_b32 exec_lo, exec_lo, s17
.LBB23_27:                              ;   in Loop: Header=BB23_5 Depth=1
	s_delay_alu instid0(SALU_CYCLE_1)
	s_or_b32 exec_lo, exec_lo, s16
	v_lshlrev_b32_e32 v14, 2, v1
	v_cmp_gt_u32_e32 vcc_lo, 24, v1
	s_barrier_signal -1
	s_barrier_wait -1
	ds_bpermute_b32 v15, v14, v3
	s_wait_dscnt 0x0
	v_add_f32_e32 v3, v3, v15
	ds_bpermute_b32 v16, v14, v4
	s_wait_dscnt 0x0
	v_dual_add_f32 v4, v4, v16 :: v_dual_bitop2_b32 v14, 64, v14 bitop3:0x54
	ds_bpermute_b32 v15, v14, v3
	v_cndmask_b32_e64 v16, 0, 8, vcc_lo
	v_cmp_gt_u32_e32 vcc_lo, 28, v1
	ds_bpermute_b32 v14, v14, v4
	v_add_lshl_u32 v16, v16, v1, 2
	s_wait_dscnt 0x0
	v_dual_add_f32 v3, v3, v15 :: v_dual_add_f32 v4, v4, v14
	ds_bpermute_b32 v14, v16, v3
	ds_bpermute_b32 v15, v16, v4
	v_cndmask_b32_e64 v16, 0, 4, vcc_lo
	v_cmp_gt_u32_e32 vcc_lo, 30, v1
	s_delay_alu instid0(VALU_DEP_2)
	v_add_lshl_u32 v16, v16, v1, 2
	s_wait_dscnt 0x0
	v_dual_add_f32 v3, v3, v14 :: v_dual_add_f32 v4, v4, v15
	ds_bpermute_b32 v14, v16, v3
	ds_bpermute_b32 v15, v16, v4
	v_cndmask_b32_e64 v16, 0, 2, vcc_lo
	v_cmp_ne_u32_e32 vcc_lo, 31, v1
	s_delay_alu instid0(VALU_DEP_2)
	v_add_lshl_u32 v16, v16, v1, 2
	s_wait_dscnt 0x0
	v_dual_add_f32 v3, v3, v14 :: v_dual_add_f32 v4, v4, v15
	ds_bpermute_b32 v14, v16, v3
	ds_bpermute_b32 v15, v16, v4
	v_add_co_ci_u32_e64 v16, null, 0, v1, vcc_lo
	s_wait_dscnt 0x1
	s_delay_alu instid0(VALU_DEP_1)
	v_dual_add_f32 v3, v3, v14 :: v_dual_lshlrev_b32 v14, 2, v16
	s_wait_dscnt 0x0
	v_add_f32_e32 v15, v4, v15
	ds_bpermute_b32 v4, v14, v3
	s_wait_dscnt 0x0
	v_add_f32_e32 v4, v3, v4
	ds_bpermute_b32 v14, v14, v15
	v_pk_mul_f32 v[16:17], v[12:13], v[4:5] op_sel:[1,0] op_sel_hi:[0,0]
	s_wait_dscnt 0x0
	v_add_f32_e32 v14, v15, v14
	s_delay_alu instid0(VALU_DEP_1) | instskip(SKIP_1) | instid1(VALU_DEP_2)
	v_pk_fma_f32 v[18:19], v[12:13], v[14:15], v[16:17] op_sel_hi:[1,0,1]
	v_pk_fma_f32 v[12:13], v[12:13], v[14:15], v[16:17] neg_lo:[0,0,1] neg_hi:[0,0,1]
	v_mov_b32_e32 v13, v19
	s_and_b32 exec_lo, exec_lo, s0
	s_cbranch_execz .LBB23_3
.LBB23_28:                              ;   in Loop: Header=BB23_5 Depth=1
	s_mul_u64 s[16:17], s[38:39], s[34:35]
	s_or_b32 s3, s12, s13
	v_lshl_add_u64 v[14:15], s[16:17], 3, v[6:7]
	s_bitset0_b32 s3, 31
	s_delay_alu instid0(SALU_CYCLE_1)
	s_cmp_eq_u32 s3, 0
	s_cbranch_scc1 .LBB23_2
; %bb.29:                               ;   in Loop: Header=BB23_5 Depth=1
	global_load_b64 v[16:17], v[14:15], off
	v_mov_b64_e32 v[18:19], s[12:13]
	s_wait_loadcnt 0x0
	s_delay_alu instid0(VALU_DEP_1) | instskip(NEXT) | instid1(VALU_DEP_1)
	v_pk_mul_f32 v[22:23], v[16:17], v[18:19] op_sel:[1,1] op_sel_hi:[0,1]
	v_pk_fma_f32 v[24:25], v[16:17], s[12:13], v[22:23] op_sel_hi:[1,0,1]
	v_pk_fma_f32 v[16:17], v[16:17], v[18:19], v[22:23] neg_lo:[0,0,1] neg_hi:[0,0,1]
	s_delay_alu instid0(VALU_DEP_2) | instskip(NEXT) | instid1(VALU_DEP_1)
	v_mov_b32_e32 v17, v25
	v_pk_add_f32 v[12:13], v[12:13], v[16:17]
	s_branch .LBB23_2
.LBB23_30:
	s_endpgm
	.section	.rodata,"a",@progbits
	.p2align	6, 0x0
	.amdhsa_kernel _ZL20rocblas_gbmvt_kernelILi64ELi16E24rocblas_internal_val_ptrI19rocblas_complex_numIfEEPKS2_PS2_Evb18rocblas_operation_iiiiT1_T2_lllS9_lllS8_T3_llli
		.amdhsa_group_segment_fixed_size 0
		.amdhsa_private_segment_fixed_size 0
		.amdhsa_kernarg_size 140
		.amdhsa_user_sgpr_count 2
		.amdhsa_user_sgpr_dispatch_ptr 0
		.amdhsa_user_sgpr_queue_ptr 0
		.amdhsa_user_sgpr_kernarg_segment_ptr 1
		.amdhsa_user_sgpr_dispatch_id 0
		.amdhsa_user_sgpr_kernarg_preload_length 0
		.amdhsa_user_sgpr_kernarg_preload_offset 0
		.amdhsa_user_sgpr_private_segment_size 0
		.amdhsa_wavefront_size32 1
		.amdhsa_uses_dynamic_stack 0
		.amdhsa_enable_private_segment 0
		.amdhsa_system_sgpr_workgroup_id_x 1
		.amdhsa_system_sgpr_workgroup_id_y 0
		.amdhsa_system_sgpr_workgroup_id_z 1
		.amdhsa_system_sgpr_workgroup_info 0
		.amdhsa_system_vgpr_workitem_id 1
		.amdhsa_next_free_vgpr 26
		.amdhsa_next_free_sgpr 44
		.amdhsa_named_barrier_count 0
		.amdhsa_reserve_vcc 1
		.amdhsa_float_round_mode_32 0
		.amdhsa_float_round_mode_16_64 0
		.amdhsa_float_denorm_mode_32 3
		.amdhsa_float_denorm_mode_16_64 3
		.amdhsa_fp16_overflow 0
		.amdhsa_memory_ordered 1
		.amdhsa_forward_progress 1
		.amdhsa_inst_pref_size 11
		.amdhsa_round_robin_scheduling 0
		.amdhsa_exception_fp_ieee_invalid_op 0
		.amdhsa_exception_fp_denorm_src 0
		.amdhsa_exception_fp_ieee_div_zero 0
		.amdhsa_exception_fp_ieee_overflow 0
		.amdhsa_exception_fp_ieee_underflow 0
		.amdhsa_exception_fp_ieee_inexact 0
		.amdhsa_exception_int_div_zero 0
	.end_amdhsa_kernel
	.section	.text._ZL20rocblas_gbmvt_kernelILi64ELi16E24rocblas_internal_val_ptrI19rocblas_complex_numIfEEPKS2_PS2_Evb18rocblas_operation_iiiiT1_T2_lllS9_lllS8_T3_llli,"axG",@progbits,_ZL20rocblas_gbmvt_kernelILi64ELi16E24rocblas_internal_val_ptrI19rocblas_complex_numIfEEPKS2_PS2_Evb18rocblas_operation_iiiiT1_T2_lllS9_lllS8_T3_llli,comdat
.Lfunc_end23:
	.size	_ZL20rocblas_gbmvt_kernelILi64ELi16E24rocblas_internal_val_ptrI19rocblas_complex_numIfEEPKS2_PS2_Evb18rocblas_operation_iiiiT1_T2_lllS9_lllS8_T3_llli, .Lfunc_end23-_ZL20rocblas_gbmvt_kernelILi64ELi16E24rocblas_internal_val_ptrI19rocblas_complex_numIfEEPKS2_PS2_Evb18rocblas_operation_iiiiT1_T2_lllS9_lllS8_T3_llli
                                        ; -- End function
	.set _ZL20rocblas_gbmvt_kernelILi64ELi16E24rocblas_internal_val_ptrI19rocblas_complex_numIfEEPKS2_PS2_Evb18rocblas_operation_iiiiT1_T2_lllS9_lllS8_T3_llli.num_vgpr, 26
	.set _ZL20rocblas_gbmvt_kernelILi64ELi16E24rocblas_internal_val_ptrI19rocblas_complex_numIfEEPKS2_PS2_Evb18rocblas_operation_iiiiT1_T2_lllS9_lllS8_T3_llli.num_agpr, 0
	.set _ZL20rocblas_gbmvt_kernelILi64ELi16E24rocblas_internal_val_ptrI19rocblas_complex_numIfEEPKS2_PS2_Evb18rocblas_operation_iiiiT1_T2_lllS9_lllS8_T3_llli.numbered_sgpr, 44
	.set _ZL20rocblas_gbmvt_kernelILi64ELi16E24rocblas_internal_val_ptrI19rocblas_complex_numIfEEPKS2_PS2_Evb18rocblas_operation_iiiiT1_T2_lllS9_lllS8_T3_llli.num_named_barrier, 0
	.set _ZL20rocblas_gbmvt_kernelILi64ELi16E24rocblas_internal_val_ptrI19rocblas_complex_numIfEEPKS2_PS2_Evb18rocblas_operation_iiiiT1_T2_lllS9_lllS8_T3_llli.private_seg_size, 0
	.set _ZL20rocblas_gbmvt_kernelILi64ELi16E24rocblas_internal_val_ptrI19rocblas_complex_numIfEEPKS2_PS2_Evb18rocblas_operation_iiiiT1_T2_lllS9_lllS8_T3_llli.uses_vcc, 1
	.set _ZL20rocblas_gbmvt_kernelILi64ELi16E24rocblas_internal_val_ptrI19rocblas_complex_numIfEEPKS2_PS2_Evb18rocblas_operation_iiiiT1_T2_lllS9_lllS8_T3_llli.uses_flat_scratch, 0
	.set _ZL20rocblas_gbmvt_kernelILi64ELi16E24rocblas_internal_val_ptrI19rocblas_complex_numIfEEPKS2_PS2_Evb18rocblas_operation_iiiiT1_T2_lllS9_lllS8_T3_llli.has_dyn_sized_stack, 0
	.set _ZL20rocblas_gbmvt_kernelILi64ELi16E24rocblas_internal_val_ptrI19rocblas_complex_numIfEEPKS2_PS2_Evb18rocblas_operation_iiiiT1_T2_lllS9_lllS8_T3_llli.has_recursion, 0
	.set _ZL20rocblas_gbmvt_kernelILi64ELi16E24rocblas_internal_val_ptrI19rocblas_complex_numIfEEPKS2_PS2_Evb18rocblas_operation_iiiiT1_T2_lllS9_lllS8_T3_llli.has_indirect_call, 0
	.section	.AMDGPU.csdata,"",@progbits
; Kernel info:
; codeLenInByte = 1344
; TotalNumSgprs: 46
; NumVgprs: 26
; ScratchSize: 0
; MemoryBound: 0
; FloatMode: 240
; IeeeMode: 1
; LDSByteSize: 0 bytes/workgroup (compile time only)
; SGPRBlocks: 0
; VGPRBlocks: 1
; NumSGPRsForWavesPerEU: 46
; NumVGPRsForWavesPerEU: 26
; NamedBarCnt: 0
; Occupancy: 16
; WaveLimiterHint : 0
; COMPUTE_PGM_RSRC2:SCRATCH_EN: 0
; COMPUTE_PGM_RSRC2:USER_SGPR: 2
; COMPUTE_PGM_RSRC2:TRAP_HANDLER: 0
; COMPUTE_PGM_RSRC2:TGID_X_EN: 1
; COMPUTE_PGM_RSRC2:TGID_Y_EN: 0
; COMPUTE_PGM_RSRC2:TGID_Z_EN: 1
; COMPUTE_PGM_RSRC2:TIDIG_COMP_CNT: 1
	.section	.text._ZL20rocblas_gbmvn_kernelILi32ELi32E24rocblas_internal_val_ptrI19rocblas_complex_numIdEEPKS2_PS2_EvbiiiiT1_T2_lllS8_lllS7_T3_llli,"axG",@progbits,_ZL20rocblas_gbmvn_kernelILi32ELi32E24rocblas_internal_val_ptrI19rocblas_complex_numIdEEPKS2_PS2_EvbiiiiT1_T2_lllS8_lllS7_T3_llli,comdat
	.globl	_ZL20rocblas_gbmvn_kernelILi32ELi32E24rocblas_internal_val_ptrI19rocblas_complex_numIdEEPKS2_PS2_EvbiiiiT1_T2_lllS8_lllS7_T3_llli ; -- Begin function _ZL20rocblas_gbmvn_kernelILi32ELi32E24rocblas_internal_val_ptrI19rocblas_complex_numIdEEPKS2_PS2_EvbiiiiT1_T2_lllS8_lllS7_T3_llli
	.p2align	8
	.type	_ZL20rocblas_gbmvn_kernelILi32ELi32E24rocblas_internal_val_ptrI19rocblas_complex_numIdEEPKS2_PS2_EvbiiiiT1_T2_lllS8_lllS7_T3_llli,@function
_ZL20rocblas_gbmvn_kernelILi32ELi32E24rocblas_internal_val_ptrI19rocblas_complex_numIdEEPKS2_PS2_EvbiiiiT1_T2_lllS8_lllS7_T3_llli: ; @_ZL20rocblas_gbmvn_kernelILi32ELi32E24rocblas_internal_val_ptrI19rocblas_complex_numIdEEPKS2_PS2_EvbiiiiT1_T2_lllS8_lllS7_T3_llli
; %bb.0:
	s_load_b32 s26, s[0:1], 0x98
	s_bfe_u32 s2, ttmp6, 0x40014
	s_lshr_b32 s3, ttmp7, 16
	s_add_co_i32 s2, s2, 1
	s_bfe_u32 s5, ttmp6, 0x40008
	s_mul_i32 s4, s3, s2
	s_getreg_b32 s2, hwreg(HW_REG_IB_STS2, 6, 4)
	s_add_co_i32 s5, s5, s4
	s_cmp_eq_u32 s2, 0
	s_mov_b32 s25, 0
	s_cselect_b32 s24, s3, s5
	s_wait_kmcnt 0x0
	s_cmp_ge_u32 s24, s26
	s_cbranch_scc1 .LBB24_24
; %bb.1:
	s_clause 0x2
	s_load_b128 s[20:23], s[0:1], 0x0
	s_load_b512 s[4:19], s[0:1], 0x58
	s_load_b32 s3, s[0:1], 0x10
	v_bfe_u32 v1, v0, 10, 10
	s_load_b512 s[36:51], s[0:1], 0x18
	v_and_b32_e32 v8, 0x3ff, v0
	s_wait_kmcnt 0x0
	s_bitcmp1_b32 s20, 0
	s_cselect_b32 s20, -1, 0
	s_bfe_u32 s27, ttmp6, 0x4000c
	s_and_b32 s28, ttmp6, 15
	s_add_co_i32 s27, s27, 1
	s_lshl_b64 s[14:15], s[14:15], 4
	s_mul_i32 s27, ttmp9, s27
	s_xor_b32 s20, s20, -1
	s_add_co_i32 s28, s28, s27
	s_cmp_eq_u32 s2, 0
	s_add_nc_u64 s[14:15], s[12:13], s[14:15]
	s_cselect_b32 s2, ttmp9, s28
	s_lshl_b64 s[0:1], s[42:43], 4
	v_lshl_add_u32 v2, s2, 5, v1
	s_lshl_b64 s[28:29], s[44:45], 9
	s_lshl_b64 s[12:13], s[46:47], 4
	;; [unrolled: 1-line block ×3, first 2 shown]
	s_delay_alu instid0(VALU_DEP_1) | instskip(SKIP_1) | instid1(VALU_DEP_2)
	v_subrev_nc_u32_e32 v1, s23, v2
	v_dual_ashrrev_i32 v3, 31, v2 :: v_dual_min_i32 v9, s23, v2
	v_max_i32_e32 v0, 0, v1
	s_delay_alu instid0(VALU_DEP_2) | instskip(SKIP_2) | instid1(VALU_DEP_1)
	v_mul_u64_e32 v[6:7], s[16:17], v[2:3]
	v_dual_sub_nc_u32 v3, s3, v8 :: v_dual_mov_b32 v15, 0
	s_mov_b64 s[16:17], 0xfffffffffffffe00
	v_dual_add_nc_u32 v12, v0, v8 :: v_dual_add_nc_u32 v14, v3, v9
	v_add_nc_u32_e32 v3, s3, v9
	s_lshl_b64 s[2:3], s[50:51], 4
	s_delay_alu instid0(VALU_DEP_2) | instskip(SKIP_1) | instid1(VALU_DEP_1)
	v_ashrrev_i32_e32 v13, 31, v12
	s_add_nc_u64 s[2:3], s[48:49], s[2:3]
	v_mul_u64_e32 v[0:1], s[44:45], v[12:13]
	v_mul_u64_e32 v[4:5], s[4:5], v[12:13]
	s_lshl_b64 s[4:5], s[4:5], 9
	v_lshl_add_u64 v[16:17], v[6:7], 4, s[14:15]
	s_add_nc_u64 s[14:15], s[28:29], s[16:17]
	s_delay_alu instid0(VALU_DEP_3)
	v_lshl_add_u64 v[0:1], v[0:1], 4, s[0:1]
	v_cmp_eq_u32_e64 s0, 0, v8
	v_sub_nc_u32_e32 v8, v3, v8
	v_cmp_gt_i32_e64 s1, s21, v2
	v_lshl_add_u64 v[2:3], v[4:5], 4, s[2:3]
	v_lshl_add_u64 v[0:1], v[14:15], 4, v[0:1]
	v_cmp_lt_i32_e64 s2, -1, v14
	v_add_nc_u32_e32 v13, 32, v8
	v_mbcnt_lo_u32_b32 v14, -1, 0
	v_add_nc_u64_e32 v[20:21], 8, v[2:3]
	v_add_nc_u64_e32 v[0:1], s[40:41], v[0:1]
	s_delay_alu instid0(VALU_DEP_1)
	v_add_nc_u64_e32 v[18:19], 8, v[0:1]
	s_branch .LBB24_5
.LBB24_2:                               ;   in Loop: Header=BB24_5 Depth=1
	global_store_b128 v[4:5], v[8:11], off
.LBB24_3:                               ;   in Loop: Header=BB24_5 Depth=1
	s_wait_xcnt 0x0
	s_or_b32 exec_lo, exec_lo, s16
.LBB24_4:                               ;   in Loop: Header=BB24_5 Depth=1
	s_add_co_i32 s24, s24, 0x10000
	s_delay_alu instid0(SALU_CYCLE_1)
	s_cmp_lt_u32 s24, s26
	s_cbranch_scc0 .LBB24_24
.LBB24_5:                               ; =>This Loop Header: Depth=1
                                        ;     Child Loop BB24_17 Depth 2
	v_mov_b64_e32 v[6:7], s[38:39]
	v_mov_b64_e32 v[4:5], s[36:37]
	s_and_not1_b32 vcc_lo, exec_lo, s20
	s_cbranch_vccnz .LBB24_7
; %bb.6:                                ;   in Loop: Header=BB24_5 Depth=1
	global_load_b128 v[4:7], v15, s[36:37]
.LBB24_7:                               ;   in Loop: Header=BB24_5 Depth=1
	v_mov_b64_e32 v[2:3], s[10:11]
	v_mov_b64_e32 v[0:1], s[8:9]
	s_and_not1_b32 vcc_lo, exec_lo, s20
	s_cbranch_vccnz .LBB24_9
; %bb.8:                                ;   in Loop: Header=BB24_5 Depth=1
	global_load_b128 v[0:3], v15, s[8:9]
.LBB24_9:                               ;   in Loop: Header=BB24_5 Depth=1
	s_wait_loadcnt 0x0
	v_cmp_neq_f64_e32 vcc_lo, 0, v[4:5]
	v_cmp_neq_f64_e64 s3, 0, v[6:7]
	s_or_b32 s17, vcc_lo, s3
	s_mov_b32 s3, -1
	s_and_b32 vcc_lo, exec_lo, s17
	s_cbranch_vccz .LBB24_11
; %bb.10:                               ;   in Loop: Header=BB24_5 Depth=1
	s_and_not1_b32 vcc_lo, exec_lo, s3
	s_cbranch_vccnz .LBB24_4
	s_branch .LBB24_12
.LBB24_11:                              ;   in Loop: Header=BB24_5 Depth=1
	v_cmp_neq_f64_e32 vcc_lo, 1.0, v[0:1]
	v_cmp_neq_f64_e64 s3, 0, v[2:3]
	s_or_b32 s3, vcc_lo, s3
	s_delay_alu instid0(SALU_CYCLE_1)
	s_and_not1_b32 vcc_lo, exec_lo, s3
	s_cbranch_vccnz .LBB24_4
.LBB24_12:                              ;   in Loop: Header=BB24_5 Depth=1
	s_wait_xcnt 0x0
	s_and_saveexec_b32 s16, s1
	s_cbranch_execz .LBB24_3
; %bb.13:                               ;   in Loop: Header=BB24_5 Depth=1
	v_mov_b64_e32 v[10:11], 0
	v_mov_b64_e32 v[8:9], 0
	s_and_not1_b32 vcc_lo, exec_lo, s17
	s_cbranch_vccnz .LBB24_21
; %bb.14:                               ;   in Loop: Header=BB24_5 Depth=1
	v_mov_b64_e32 v[8:9], 0
	v_mov_b64_e32 v[10:11], 0
	s_and_saveexec_b32 s3, s2
	s_cbranch_execz .LBB24_20
; %bb.15:                               ;   in Loop: Header=BB24_5 Depth=1
	v_mad_nc_u64_u32 v[22:23], s12, s24, v[18:19]
	v_mad_nc_u64_u32 v[24:25], s6, s24, v[20:21]
	v_mov_b64_e32 v[8:9], 0
	v_mov_b64_e32 v[10:11], 0
	v_dual_mov_b32 v26, v13 :: v_dual_mov_b32 v27, v12
	s_mov_b32 s17, 0
	v_mad_u32 v23, s13, s24, v23
	v_mad_u32 v25, s7, s24, v25
	s_branch .LBB24_17
.LBB24_16:                              ;   in Loop: Header=BB24_17 Depth=2
	s_wait_xcnt 0x0
	s_or_b32 exec_lo, exec_lo, s21
	v_subrev_nc_u32_e32 v26, 32, v26
	s_delay_alu instid0(VALU_DEP_4) | instskip(NEXT) | instid1(VALU_DEP_4)
	v_add_nc_u64_e32 v[22:23], s[14:15], v[22:23]
	v_add_nc_u64_e32 v[24:25], s[4:5], v[24:25]
	v_add_nc_u32_e32 v27, 32, v27
	s_delay_alu instid0(VALU_DEP_4) | instskip(SKIP_1) | instid1(SALU_CYCLE_1)
	v_cmp_gt_u32_e32 vcc_lo, 32, v26
	s_or_b32 s17, vcc_lo, s17
	s_and_not1_b32 exec_lo, exec_lo, s17
	s_cbranch_execz .LBB24_19
.LBB24_17:                              ;   Parent Loop BB24_5 Depth=1
                                        ; =>  This Inner Loop Header: Depth=2
	s_mov_b32 s21, exec_lo
	v_cmpx_gt_i32_e64 s22, v27
	s_cbranch_execz .LBB24_16
; %bb.18:                               ;   in Loop: Header=BB24_17 Depth=2
	global_load_b128 v[28:31], v[24:25], off offset:-8
	global_load_b128 v[32:35], v[22:23], off offset:-8
	s_wait_loadcnt 0x0
	v_mul_f64_e32 v[36:37], v[30:31], v[34:35]
	v_mul_f64_e32 v[34:35], v[28:29], v[34:35]
	s_delay_alu instid0(VALU_DEP_2) | instskip(NEXT) | instid1(VALU_DEP_2)
	v_fma_f64 v[28:29], v[28:29], v[32:33], -v[36:37]
	v_fmac_f64_e32 v[34:35], v[30:31], v[32:33]
	s_delay_alu instid0(VALU_DEP_2) | instskip(NEXT) | instid1(VALU_DEP_2)
	v_add_f64_e32 v[10:11], v[10:11], v[28:29]
	v_add_f64_e32 v[8:9], v[8:9], v[34:35]
	s_branch .LBB24_16
.LBB24_19:                              ;   in Loop: Header=BB24_5 Depth=1
	s_or_b32 exec_lo, exec_lo, s17
.LBB24_20:                              ;   in Loop: Header=BB24_5 Depth=1
	s_delay_alu instid0(SALU_CYCLE_1)
	s_or_b32 exec_lo, exec_lo, s3
	v_lshl_or_b32 v24, v14, 2, 64
	v_cmp_gt_u32_e32 vcc_lo, 24, v14
	s_barrier_signal -1
	s_barrier_wait -1
	ds_bpermute_b32 v22, v24, v8
	ds_bpermute_b32 v23, v24, v9
	s_wait_dscnt 0x0
	v_add_f64_e32 v[8:9], v[8:9], v[22:23]
	ds_bpermute_b32 v22, v24, v10
	ds_bpermute_b32 v23, v24, v11
	v_cndmask_b32_e64 v24, 0, 8, vcc_lo
	v_cmp_gt_u32_e32 vcc_lo, 28, v14
	s_delay_alu instid0(VALU_DEP_2)
	v_add_lshl_u32 v24, v24, v14, 2
	s_wait_dscnt 0x0
	v_add_f64_e32 v[10:11], v[10:11], v[22:23]
	ds_bpermute_b32 v22, v24, v8
	ds_bpermute_b32 v23, v24, v9
	s_wait_dscnt 0x0
	v_add_f64_e32 v[8:9], v[8:9], v[22:23]
	ds_bpermute_b32 v22, v24, v10
	ds_bpermute_b32 v23, v24, v11
	v_cndmask_b32_e64 v24, 0, 4, vcc_lo
	v_cmp_gt_u32_e32 vcc_lo, 30, v14
	s_delay_alu instid0(VALU_DEP_2)
	v_add_lshl_u32 v24, v24, v14, 2
	s_wait_dscnt 0x0
	v_add_f64_e32 v[10:11], v[10:11], v[22:23]
	ds_bpermute_b32 v22, v24, v8
	ds_bpermute_b32 v23, v24, v9
	s_wait_dscnt 0x0
	v_add_f64_e32 v[8:9], v[8:9], v[22:23]
	ds_bpermute_b32 v22, v24, v10
	ds_bpermute_b32 v23, v24, v11
	v_cndmask_b32_e64 v24, 0, 2, vcc_lo
	v_cmp_ne_u32_e32 vcc_lo, 31, v14
	s_delay_alu instid0(VALU_DEP_2)
	v_add_lshl_u32 v24, v24, v14, 2
	s_wait_dscnt 0x0
	v_add_f64_e32 v[10:11], v[10:11], v[22:23]
	ds_bpermute_b32 v22, v24, v8
	ds_bpermute_b32 v23, v24, v9
	s_wait_dscnt 0x0
	v_add_f64_e32 v[8:9], v[8:9], v[22:23]
	ds_bpermute_b32 v22, v24, v10
	ds_bpermute_b32 v23, v24, v11
	v_add_co_ci_u32_e64 v24, null, 0, v14, vcc_lo
	s_wait_dscnt 0x0
	s_delay_alu instid0(VALU_DEP_1)
	v_dual_add_f64 v[10:11], v[10:11], v[22:23] :: v_dual_lshlrev_b32 v24, 2, v24
	ds_bpermute_b32 v22, v24, v8
	ds_bpermute_b32 v23, v24, v9
	s_wait_dscnt 0x0
	v_add_f64_e32 v[8:9], v[8:9], v[22:23]
	ds_bpermute_b32 v22, v24, v10
	ds_bpermute_b32 v23, v24, v11
	s_wait_dscnt 0x0
	v_add_f64_e32 v[22:23], v[10:11], v[22:23]
	v_mul_f64_e32 v[24:25], v[6:7], v[8:9]
	v_mul_f64_e32 v[10:11], v[4:5], v[8:9]
	s_delay_alu instid0(VALU_DEP_2) | instskip(NEXT) | instid1(VALU_DEP_2)
	v_fma_f64 v[8:9], v[4:5], v[22:23], -v[24:25]
	v_fmac_f64_e32 v[10:11], v[6:7], v[22:23]
.LBB24_21:                              ;   in Loop: Header=BB24_5 Depth=1
	s_and_b32 exec_lo, exec_lo, s0
	s_cbranch_execz .LBB24_3
; %bb.22:                               ;   in Loop: Header=BB24_5 Depth=1
	v_cmp_neq_f64_e32 vcc_lo, 0, v[0:1]
	v_cmp_neq_f64_e64 s3, 0, v[2:3]
	s_mul_u64 s[28:29], s[18:19], s[24:25]
	s_delay_alu instid0(SALU_CYCLE_1) | instskip(SKIP_1) | instid1(SALU_CYCLE_1)
	v_lshl_add_u64 v[4:5], s[28:29], 4, v[16:17]
	s_or_b32 s3, vcc_lo, s3
	s_and_not1_b32 vcc_lo, exec_lo, s3
	s_cbranch_vccnz .LBB24_2
; %bb.23:                               ;   in Loop: Header=BB24_5 Depth=1
	global_load_b128 v[22:25], v[4:5], off
	s_wait_loadcnt 0x0
	v_mul_f64_e32 v[6:7], v[2:3], v[24:25]
	v_mul_f64_e32 v[24:25], v[0:1], v[24:25]
	s_delay_alu instid0(VALU_DEP_2) | instskip(NEXT) | instid1(VALU_DEP_2)
	v_fma_f64 v[0:1], v[0:1], v[22:23], -v[6:7]
	v_fmac_f64_e32 v[24:25], v[2:3], v[22:23]
	s_delay_alu instid0(VALU_DEP_2) | instskip(NEXT) | instid1(VALU_DEP_2)
	v_add_f64_e32 v[8:9], v[8:9], v[0:1]
	v_add_f64_e32 v[10:11], v[10:11], v[24:25]
	s_branch .LBB24_2
.LBB24_24:
	s_endpgm
	.section	.rodata,"a",@progbits
	.p2align	6, 0x0
	.amdhsa_kernel _ZL20rocblas_gbmvn_kernelILi32ELi32E24rocblas_internal_val_ptrI19rocblas_complex_numIdEEPKS2_PS2_EvbiiiiT1_T2_lllS8_lllS7_T3_llli
		.amdhsa_group_segment_fixed_size 0
		.amdhsa_private_segment_fixed_size 0
		.amdhsa_kernarg_size 156
		.amdhsa_user_sgpr_count 2
		.amdhsa_user_sgpr_dispatch_ptr 0
		.amdhsa_user_sgpr_queue_ptr 0
		.amdhsa_user_sgpr_kernarg_segment_ptr 1
		.amdhsa_user_sgpr_dispatch_id 0
		.amdhsa_user_sgpr_kernarg_preload_length 0
		.amdhsa_user_sgpr_kernarg_preload_offset 0
		.amdhsa_user_sgpr_private_segment_size 0
		.amdhsa_wavefront_size32 1
		.amdhsa_uses_dynamic_stack 0
		.amdhsa_enable_private_segment 0
		.amdhsa_system_sgpr_workgroup_id_x 1
		.amdhsa_system_sgpr_workgroup_id_y 0
		.amdhsa_system_sgpr_workgroup_id_z 1
		.amdhsa_system_sgpr_workgroup_info 0
		.amdhsa_system_vgpr_workitem_id 1
		.amdhsa_next_free_vgpr 38
		.amdhsa_next_free_sgpr 52
		.amdhsa_named_barrier_count 0
		.amdhsa_reserve_vcc 1
		.amdhsa_float_round_mode_32 0
		.amdhsa_float_round_mode_16_64 0
		.amdhsa_float_denorm_mode_32 3
		.amdhsa_float_denorm_mode_16_64 3
		.amdhsa_fp16_overflow 0
		.amdhsa_memory_ordered 1
		.amdhsa_forward_progress 1
		.amdhsa_inst_pref_size 11
		.amdhsa_round_robin_scheduling 0
		.amdhsa_exception_fp_ieee_invalid_op 0
		.amdhsa_exception_fp_denorm_src 0
		.amdhsa_exception_fp_ieee_div_zero 0
		.amdhsa_exception_fp_ieee_overflow 0
		.amdhsa_exception_fp_ieee_underflow 0
		.amdhsa_exception_fp_ieee_inexact 0
		.amdhsa_exception_int_div_zero 0
	.end_amdhsa_kernel
	.section	.text._ZL20rocblas_gbmvn_kernelILi32ELi32E24rocblas_internal_val_ptrI19rocblas_complex_numIdEEPKS2_PS2_EvbiiiiT1_T2_lllS8_lllS7_T3_llli,"axG",@progbits,_ZL20rocblas_gbmvn_kernelILi32ELi32E24rocblas_internal_val_ptrI19rocblas_complex_numIdEEPKS2_PS2_EvbiiiiT1_T2_lllS8_lllS7_T3_llli,comdat
.Lfunc_end24:
	.size	_ZL20rocblas_gbmvn_kernelILi32ELi32E24rocblas_internal_val_ptrI19rocblas_complex_numIdEEPKS2_PS2_EvbiiiiT1_T2_lllS8_lllS7_T3_llli, .Lfunc_end24-_ZL20rocblas_gbmvn_kernelILi32ELi32E24rocblas_internal_val_ptrI19rocblas_complex_numIdEEPKS2_PS2_EvbiiiiT1_T2_lllS8_lllS7_T3_llli
                                        ; -- End function
	.set _ZL20rocblas_gbmvn_kernelILi32ELi32E24rocblas_internal_val_ptrI19rocblas_complex_numIdEEPKS2_PS2_EvbiiiiT1_T2_lllS8_lllS7_T3_llli.num_vgpr, 38
	.set _ZL20rocblas_gbmvn_kernelILi32ELi32E24rocblas_internal_val_ptrI19rocblas_complex_numIdEEPKS2_PS2_EvbiiiiT1_T2_lllS8_lllS7_T3_llli.num_agpr, 0
	.set _ZL20rocblas_gbmvn_kernelILi32ELi32E24rocblas_internal_val_ptrI19rocblas_complex_numIdEEPKS2_PS2_EvbiiiiT1_T2_lllS8_lllS7_T3_llli.numbered_sgpr, 52
	.set _ZL20rocblas_gbmvn_kernelILi32ELi32E24rocblas_internal_val_ptrI19rocblas_complex_numIdEEPKS2_PS2_EvbiiiiT1_T2_lllS8_lllS7_T3_llli.num_named_barrier, 0
	.set _ZL20rocblas_gbmvn_kernelILi32ELi32E24rocblas_internal_val_ptrI19rocblas_complex_numIdEEPKS2_PS2_EvbiiiiT1_T2_lllS8_lllS7_T3_llli.private_seg_size, 0
	.set _ZL20rocblas_gbmvn_kernelILi32ELi32E24rocblas_internal_val_ptrI19rocblas_complex_numIdEEPKS2_PS2_EvbiiiiT1_T2_lllS8_lllS7_T3_llli.uses_vcc, 1
	.set _ZL20rocblas_gbmvn_kernelILi32ELi32E24rocblas_internal_val_ptrI19rocblas_complex_numIdEEPKS2_PS2_EvbiiiiT1_T2_lllS8_lllS7_T3_llli.uses_flat_scratch, 0
	.set _ZL20rocblas_gbmvn_kernelILi32ELi32E24rocblas_internal_val_ptrI19rocblas_complex_numIdEEPKS2_PS2_EvbiiiiT1_T2_lllS8_lllS7_T3_llli.has_dyn_sized_stack, 0
	.set _ZL20rocblas_gbmvn_kernelILi32ELi32E24rocblas_internal_val_ptrI19rocblas_complex_numIdEEPKS2_PS2_EvbiiiiT1_T2_lllS8_lllS7_T3_llli.has_recursion, 0
	.set _ZL20rocblas_gbmvn_kernelILi32ELi32E24rocblas_internal_val_ptrI19rocblas_complex_numIdEEPKS2_PS2_EvbiiiiT1_T2_lllS8_lllS7_T3_llli.has_indirect_call, 0
	.section	.AMDGPU.csdata,"",@progbits
; Kernel info:
; codeLenInByte = 1292
; TotalNumSgprs: 54
; NumVgprs: 38
; ScratchSize: 0
; MemoryBound: 0
; FloatMode: 240
; IeeeMode: 1
; LDSByteSize: 0 bytes/workgroup (compile time only)
; SGPRBlocks: 0
; VGPRBlocks: 2
; NumSGPRsForWavesPerEU: 54
; NumVGPRsForWavesPerEU: 38
; NamedBarCnt: 0
; Occupancy: 16
; WaveLimiterHint : 0
; COMPUTE_PGM_RSRC2:SCRATCH_EN: 0
; COMPUTE_PGM_RSRC2:USER_SGPR: 2
; COMPUTE_PGM_RSRC2:TRAP_HANDLER: 0
; COMPUTE_PGM_RSRC2:TGID_X_EN: 1
; COMPUTE_PGM_RSRC2:TGID_Y_EN: 0
; COMPUTE_PGM_RSRC2:TGID_Z_EN: 1
; COMPUTE_PGM_RSRC2:TIDIG_COMP_CNT: 1
	.section	.text._ZL20rocblas_gbmvn_kernelILi64ELi16E24rocblas_internal_val_ptrI19rocblas_complex_numIdEEPKS2_PS2_EvbiiiiT1_T2_lllS8_lllS7_T3_llli,"axG",@progbits,_ZL20rocblas_gbmvn_kernelILi64ELi16E24rocblas_internal_val_ptrI19rocblas_complex_numIdEEPKS2_PS2_EvbiiiiT1_T2_lllS8_lllS7_T3_llli,comdat
	.globl	_ZL20rocblas_gbmvn_kernelILi64ELi16E24rocblas_internal_val_ptrI19rocblas_complex_numIdEEPKS2_PS2_EvbiiiiT1_T2_lllS8_lllS7_T3_llli ; -- Begin function _ZL20rocblas_gbmvn_kernelILi64ELi16E24rocblas_internal_val_ptrI19rocblas_complex_numIdEEPKS2_PS2_EvbiiiiT1_T2_lllS8_lllS7_T3_llli
	.p2align	8
	.type	_ZL20rocblas_gbmvn_kernelILi64ELi16E24rocblas_internal_val_ptrI19rocblas_complex_numIdEEPKS2_PS2_EvbiiiiT1_T2_lllS8_lllS7_T3_llli,@function
_ZL20rocblas_gbmvn_kernelILi64ELi16E24rocblas_internal_val_ptrI19rocblas_complex_numIdEEPKS2_PS2_EvbiiiiT1_T2_lllS8_lllS7_T3_llli: ; @_ZL20rocblas_gbmvn_kernelILi64ELi16E24rocblas_internal_val_ptrI19rocblas_complex_numIdEEPKS2_PS2_EvbiiiiT1_T2_lllS8_lllS7_T3_llli
; %bb.0:
	s_load_b32 s26, s[0:1], 0x98
	s_bfe_u32 s2, ttmp6, 0x40014
	s_lshr_b32 s3, ttmp7, 16
	s_add_co_i32 s2, s2, 1
	s_bfe_u32 s5, ttmp6, 0x40008
	s_mul_i32 s4, s3, s2
	s_getreg_b32 s2, hwreg(HW_REG_IB_STS2, 6, 4)
	s_add_co_i32 s5, s5, s4
	s_cmp_eq_u32 s2, 0
	s_mov_b32 s25, 0
	s_cselect_b32 s24, s3, s5
	s_wait_kmcnt 0x0
	s_cmp_ge_u32 s24, s26
	s_cbranch_scc1 .LBB25_24
; %bb.1:
	s_clause 0x2
	s_load_b128 s[20:23], s[0:1], 0x0
	s_load_b512 s[4:19], s[0:1], 0x58
	s_load_b32 s3, s[0:1], 0x10
	v_bfe_u32 v1, v0, 10, 10
	s_load_b512 s[36:51], s[0:1], 0x18
	v_and_b32_e32 v8, 0x3ff, v0
	s_wait_kmcnt 0x0
	s_bitcmp1_b32 s20, 0
	s_cselect_b32 s20, -1, 0
	s_bfe_u32 s27, ttmp6, 0x4000c
	s_and_b32 s28, ttmp6, 15
	s_add_co_i32 s27, s27, 1
	s_lshl_b64 s[14:15], s[14:15], 4
	s_mul_i32 s27, ttmp9, s27
	s_xor_b32 s20, s20, -1
	s_add_co_i32 s28, s28, s27
	s_cmp_eq_u32 s2, 0
	s_add_nc_u64 s[14:15], s[12:13], s[14:15]
	s_cselect_b32 s2, ttmp9, s28
	s_lshl_b64 s[0:1], s[42:43], 4
	v_lshl_add_u32 v2, s2, 4, v1
	s_lshl_b64 s[28:29], s[44:45], 10
	s_lshl_b64 s[12:13], s[46:47], 4
	;; [unrolled: 1-line block ×3, first 2 shown]
	s_delay_alu instid0(VALU_DEP_1) | instskip(SKIP_1) | instid1(VALU_DEP_2)
	v_subrev_nc_u32_e32 v1, s23, v2
	v_dual_ashrrev_i32 v3, 31, v2 :: v_dual_min_i32 v9, s23, v2
	v_max_i32_e32 v0, 0, v1
	s_delay_alu instid0(VALU_DEP_2) | instskip(SKIP_2) | instid1(VALU_DEP_1)
	v_mul_u64_e32 v[6:7], s[16:17], v[2:3]
	v_dual_sub_nc_u32 v3, s3, v8 :: v_dual_mov_b32 v15, 0
	s_mov_b64 s[16:17], 0xfffffffffffffc00
	v_dual_add_nc_u32 v12, v0, v8 :: v_dual_add_nc_u32 v14, v3, v9
	v_add_nc_u32_e32 v3, s3, v9
	s_lshl_b64 s[2:3], s[50:51], 4
	s_delay_alu instid0(VALU_DEP_2) | instskip(SKIP_1) | instid1(VALU_DEP_1)
	v_ashrrev_i32_e32 v13, 31, v12
	s_add_nc_u64 s[2:3], s[48:49], s[2:3]
	v_mul_u64_e32 v[0:1], s[44:45], v[12:13]
	v_mul_u64_e32 v[4:5], s[4:5], v[12:13]
	s_lshl_b64 s[4:5], s[4:5], 10
	v_lshl_add_u64 v[16:17], v[6:7], 4, s[14:15]
	s_add_nc_u64 s[14:15], s[28:29], s[16:17]
	s_delay_alu instid0(VALU_DEP_3)
	v_lshl_add_u64 v[0:1], v[0:1], 4, s[0:1]
	v_cmp_eq_u32_e64 s0, 0, v8
	v_sub_nc_u32_e32 v8, v3, v8
	v_cmp_gt_i32_e64 s1, s21, v2
	v_lshl_add_u64 v[2:3], v[4:5], 4, s[2:3]
	v_lshl_add_u64 v[0:1], v[14:15], 4, v[0:1]
	v_cmp_lt_i32_e64 s2, -1, v14
	v_add_nc_u32_e32 v13, 64, v8
	v_mbcnt_lo_u32_b32 v14, -1, 0
	v_add_nc_u64_e32 v[20:21], 8, v[2:3]
	v_add_nc_u64_e32 v[0:1], s[40:41], v[0:1]
	s_delay_alu instid0(VALU_DEP_1)
	v_add_nc_u64_e32 v[18:19], 8, v[0:1]
	s_branch .LBB25_5
.LBB25_2:                               ;   in Loop: Header=BB25_5 Depth=1
	global_store_b128 v[4:5], v[8:11], off
.LBB25_3:                               ;   in Loop: Header=BB25_5 Depth=1
	s_wait_xcnt 0x0
	s_or_b32 exec_lo, exec_lo, s16
.LBB25_4:                               ;   in Loop: Header=BB25_5 Depth=1
	s_add_co_i32 s24, s24, 0x10000
	s_delay_alu instid0(SALU_CYCLE_1)
	s_cmp_lt_u32 s24, s26
	s_cbranch_scc0 .LBB25_24
.LBB25_5:                               ; =>This Loop Header: Depth=1
                                        ;     Child Loop BB25_17 Depth 2
	v_mov_b64_e32 v[6:7], s[38:39]
	v_mov_b64_e32 v[4:5], s[36:37]
	s_and_not1_b32 vcc_lo, exec_lo, s20
	s_cbranch_vccnz .LBB25_7
; %bb.6:                                ;   in Loop: Header=BB25_5 Depth=1
	global_load_b128 v[4:7], v15, s[36:37]
.LBB25_7:                               ;   in Loop: Header=BB25_5 Depth=1
	v_mov_b64_e32 v[2:3], s[10:11]
	v_mov_b64_e32 v[0:1], s[8:9]
	s_and_not1_b32 vcc_lo, exec_lo, s20
	s_cbranch_vccnz .LBB25_9
; %bb.8:                                ;   in Loop: Header=BB25_5 Depth=1
	global_load_b128 v[0:3], v15, s[8:9]
.LBB25_9:                               ;   in Loop: Header=BB25_5 Depth=1
	s_wait_loadcnt 0x0
	v_cmp_neq_f64_e32 vcc_lo, 0, v[4:5]
	v_cmp_neq_f64_e64 s3, 0, v[6:7]
	s_or_b32 s17, vcc_lo, s3
	s_mov_b32 s3, -1
	s_and_b32 vcc_lo, exec_lo, s17
	s_cbranch_vccz .LBB25_11
; %bb.10:                               ;   in Loop: Header=BB25_5 Depth=1
	s_and_not1_b32 vcc_lo, exec_lo, s3
	s_cbranch_vccnz .LBB25_4
	s_branch .LBB25_12
.LBB25_11:                              ;   in Loop: Header=BB25_5 Depth=1
	v_cmp_neq_f64_e32 vcc_lo, 1.0, v[0:1]
	v_cmp_neq_f64_e64 s3, 0, v[2:3]
	s_or_b32 s3, vcc_lo, s3
	s_delay_alu instid0(SALU_CYCLE_1)
	s_and_not1_b32 vcc_lo, exec_lo, s3
	s_cbranch_vccnz .LBB25_4
.LBB25_12:                              ;   in Loop: Header=BB25_5 Depth=1
	s_wait_xcnt 0x0
	s_and_saveexec_b32 s16, s1
	s_cbranch_execz .LBB25_3
; %bb.13:                               ;   in Loop: Header=BB25_5 Depth=1
	v_mov_b64_e32 v[10:11], 0
	v_mov_b64_e32 v[8:9], 0
	s_and_not1_b32 vcc_lo, exec_lo, s17
	s_cbranch_vccnz .LBB25_21
; %bb.14:                               ;   in Loop: Header=BB25_5 Depth=1
	v_mov_b64_e32 v[8:9], 0
	v_mov_b64_e32 v[10:11], 0
	s_and_saveexec_b32 s3, s2
	s_cbranch_execz .LBB25_20
; %bb.15:                               ;   in Loop: Header=BB25_5 Depth=1
	v_mad_nc_u64_u32 v[22:23], s12, s24, v[18:19]
	v_mad_nc_u64_u32 v[24:25], s6, s24, v[20:21]
	v_mov_b64_e32 v[8:9], 0
	v_mov_b64_e32 v[10:11], 0
	v_dual_mov_b32 v26, v13 :: v_dual_mov_b32 v27, v12
	s_mov_b32 s17, 0
	v_mad_u32 v23, s13, s24, v23
	v_mad_u32 v25, s7, s24, v25
	s_branch .LBB25_17
.LBB25_16:                              ;   in Loop: Header=BB25_17 Depth=2
	s_wait_xcnt 0x0
	s_or_b32 exec_lo, exec_lo, s21
	v_subrev_nc_u32_e32 v26, 64, v26
	s_delay_alu instid0(VALU_DEP_4) | instskip(NEXT) | instid1(VALU_DEP_4)
	v_add_nc_u64_e32 v[22:23], s[14:15], v[22:23]
	v_add_nc_u64_e32 v[24:25], s[4:5], v[24:25]
	v_add_nc_u32_e32 v27, 64, v27
	s_delay_alu instid0(VALU_DEP_4) | instskip(SKIP_1) | instid1(SALU_CYCLE_1)
	v_cmp_gt_u32_e32 vcc_lo, 64, v26
	s_or_b32 s17, vcc_lo, s17
	s_and_not1_b32 exec_lo, exec_lo, s17
	s_cbranch_execz .LBB25_19
.LBB25_17:                              ;   Parent Loop BB25_5 Depth=1
                                        ; =>  This Inner Loop Header: Depth=2
	s_mov_b32 s21, exec_lo
	v_cmpx_gt_i32_e64 s22, v27
	s_cbranch_execz .LBB25_16
; %bb.18:                               ;   in Loop: Header=BB25_17 Depth=2
	global_load_b128 v[28:31], v[24:25], off offset:-8
	global_load_b128 v[32:35], v[22:23], off offset:-8
	s_wait_loadcnt 0x0
	v_mul_f64_e32 v[36:37], v[30:31], v[34:35]
	v_mul_f64_e32 v[34:35], v[28:29], v[34:35]
	s_delay_alu instid0(VALU_DEP_2) | instskip(NEXT) | instid1(VALU_DEP_2)
	v_fma_f64 v[28:29], v[28:29], v[32:33], -v[36:37]
	v_fmac_f64_e32 v[34:35], v[30:31], v[32:33]
	s_delay_alu instid0(VALU_DEP_2) | instskip(NEXT) | instid1(VALU_DEP_2)
	v_add_f64_e32 v[10:11], v[10:11], v[28:29]
	v_add_f64_e32 v[8:9], v[8:9], v[34:35]
	s_branch .LBB25_16
.LBB25_19:                              ;   in Loop: Header=BB25_5 Depth=1
	s_or_b32 exec_lo, exec_lo, s17
.LBB25_20:                              ;   in Loop: Header=BB25_5 Depth=1
	s_delay_alu instid0(SALU_CYCLE_1)
	s_or_b32 exec_lo, exec_lo, s3
	v_lshlrev_b32_e32 v24, 2, v14
	v_cmp_gt_u32_e32 vcc_lo, 24, v14
	s_barrier_signal -1
	s_barrier_wait -1
	ds_bpermute_b32 v22, v24, v8
	ds_bpermute_b32 v23, v24, v9
	s_wait_dscnt 0x0
	v_add_f64_e32 v[8:9], v[8:9], v[22:23]
	ds_bpermute_b32 v22, v24, v10
	ds_bpermute_b32 v23, v24, v11
	s_wait_dscnt 0x0
	v_dual_add_f64 v[10:11], v[10:11], v[22:23] :: v_dual_bitop2_b32 v24, 64, v24 bitop3:0x54
	ds_bpermute_b32 v22, v24, v8
	ds_bpermute_b32 v23, v24, v9
	s_wait_dscnt 0x0
	v_add_f64_e32 v[8:9], v[8:9], v[22:23]
	ds_bpermute_b32 v22, v24, v10
	ds_bpermute_b32 v23, v24, v11
	v_cndmask_b32_e64 v24, 0, 8, vcc_lo
	v_cmp_gt_u32_e32 vcc_lo, 28, v14
	s_delay_alu instid0(VALU_DEP_2)
	v_add_lshl_u32 v24, v24, v14, 2
	s_wait_dscnt 0x0
	v_add_f64_e32 v[10:11], v[10:11], v[22:23]
	ds_bpermute_b32 v22, v24, v8
	ds_bpermute_b32 v23, v24, v9
	s_wait_dscnt 0x0
	v_add_f64_e32 v[8:9], v[8:9], v[22:23]
	ds_bpermute_b32 v22, v24, v10
	ds_bpermute_b32 v23, v24, v11
	v_cndmask_b32_e64 v24, 0, 4, vcc_lo
	v_cmp_gt_u32_e32 vcc_lo, 30, v14
	s_delay_alu instid0(VALU_DEP_2)
	v_add_lshl_u32 v24, v24, v14, 2
	s_wait_dscnt 0x0
	v_add_f64_e32 v[10:11], v[10:11], v[22:23]
	ds_bpermute_b32 v22, v24, v8
	ds_bpermute_b32 v23, v24, v9
	s_wait_dscnt 0x0
	v_add_f64_e32 v[8:9], v[8:9], v[22:23]
	ds_bpermute_b32 v22, v24, v10
	ds_bpermute_b32 v23, v24, v11
	v_cndmask_b32_e64 v24, 0, 2, vcc_lo
	v_cmp_ne_u32_e32 vcc_lo, 31, v14
	s_delay_alu instid0(VALU_DEP_2)
	v_add_lshl_u32 v24, v24, v14, 2
	s_wait_dscnt 0x0
	v_add_f64_e32 v[10:11], v[10:11], v[22:23]
	ds_bpermute_b32 v22, v24, v8
	ds_bpermute_b32 v23, v24, v9
	s_wait_dscnt 0x0
	v_add_f64_e32 v[8:9], v[8:9], v[22:23]
	ds_bpermute_b32 v22, v24, v10
	ds_bpermute_b32 v23, v24, v11
	v_add_co_ci_u32_e64 v24, null, 0, v14, vcc_lo
	s_wait_dscnt 0x0
	s_delay_alu instid0(VALU_DEP_1)
	v_dual_add_f64 v[10:11], v[10:11], v[22:23] :: v_dual_lshlrev_b32 v24, 2, v24
	ds_bpermute_b32 v22, v24, v8
	ds_bpermute_b32 v23, v24, v9
	s_wait_dscnt 0x0
	v_add_f64_e32 v[8:9], v[8:9], v[22:23]
	ds_bpermute_b32 v22, v24, v10
	ds_bpermute_b32 v23, v24, v11
	s_wait_dscnt 0x0
	v_add_f64_e32 v[22:23], v[10:11], v[22:23]
	v_mul_f64_e32 v[24:25], v[6:7], v[8:9]
	v_mul_f64_e32 v[10:11], v[4:5], v[8:9]
	s_delay_alu instid0(VALU_DEP_2) | instskip(NEXT) | instid1(VALU_DEP_2)
	v_fma_f64 v[8:9], v[4:5], v[22:23], -v[24:25]
	v_fmac_f64_e32 v[10:11], v[6:7], v[22:23]
.LBB25_21:                              ;   in Loop: Header=BB25_5 Depth=1
	s_and_b32 exec_lo, exec_lo, s0
	s_cbranch_execz .LBB25_3
; %bb.22:                               ;   in Loop: Header=BB25_5 Depth=1
	v_cmp_neq_f64_e32 vcc_lo, 0, v[0:1]
	v_cmp_neq_f64_e64 s3, 0, v[2:3]
	s_mul_u64 s[28:29], s[18:19], s[24:25]
	s_delay_alu instid0(SALU_CYCLE_1) | instskip(SKIP_1) | instid1(SALU_CYCLE_1)
	v_lshl_add_u64 v[4:5], s[28:29], 4, v[16:17]
	s_or_b32 s3, vcc_lo, s3
	s_and_not1_b32 vcc_lo, exec_lo, s3
	s_cbranch_vccnz .LBB25_2
; %bb.23:                               ;   in Loop: Header=BB25_5 Depth=1
	global_load_b128 v[22:25], v[4:5], off
	s_wait_loadcnt 0x0
	v_mul_f64_e32 v[6:7], v[2:3], v[24:25]
	v_mul_f64_e32 v[24:25], v[0:1], v[24:25]
	s_delay_alu instid0(VALU_DEP_2) | instskip(NEXT) | instid1(VALU_DEP_2)
	v_fma_f64 v[0:1], v[0:1], v[22:23], -v[6:7]
	v_fmac_f64_e32 v[24:25], v[2:3], v[22:23]
	s_delay_alu instid0(VALU_DEP_2) | instskip(NEXT) | instid1(VALU_DEP_2)
	v_add_f64_e32 v[8:9], v[8:9], v[0:1]
	v_add_f64_e32 v[10:11], v[10:11], v[24:25]
	s_branch .LBB25_2
.LBB25_24:
	s_endpgm
	.section	.rodata,"a",@progbits
	.p2align	6, 0x0
	.amdhsa_kernel _ZL20rocblas_gbmvn_kernelILi64ELi16E24rocblas_internal_val_ptrI19rocblas_complex_numIdEEPKS2_PS2_EvbiiiiT1_T2_lllS8_lllS7_T3_llli
		.amdhsa_group_segment_fixed_size 0
		.amdhsa_private_segment_fixed_size 0
		.amdhsa_kernarg_size 156
		.amdhsa_user_sgpr_count 2
		.amdhsa_user_sgpr_dispatch_ptr 0
		.amdhsa_user_sgpr_queue_ptr 0
		.amdhsa_user_sgpr_kernarg_segment_ptr 1
		.amdhsa_user_sgpr_dispatch_id 0
		.amdhsa_user_sgpr_kernarg_preload_length 0
		.amdhsa_user_sgpr_kernarg_preload_offset 0
		.amdhsa_user_sgpr_private_segment_size 0
		.amdhsa_wavefront_size32 1
		.amdhsa_uses_dynamic_stack 0
		.amdhsa_enable_private_segment 0
		.amdhsa_system_sgpr_workgroup_id_x 1
		.amdhsa_system_sgpr_workgroup_id_y 0
		.amdhsa_system_sgpr_workgroup_id_z 1
		.amdhsa_system_sgpr_workgroup_info 0
		.amdhsa_system_vgpr_workitem_id 1
		.amdhsa_next_free_vgpr 38
		.amdhsa_next_free_sgpr 52
		.amdhsa_named_barrier_count 0
		.amdhsa_reserve_vcc 1
		.amdhsa_float_round_mode_32 0
		.amdhsa_float_round_mode_16_64 0
		.amdhsa_float_denorm_mode_32 3
		.amdhsa_float_denorm_mode_16_64 3
		.amdhsa_fp16_overflow 0
		.amdhsa_memory_ordered 1
		.amdhsa_forward_progress 1
		.amdhsa_inst_pref_size 11
		.amdhsa_round_robin_scheduling 0
		.amdhsa_exception_fp_ieee_invalid_op 0
		.amdhsa_exception_fp_denorm_src 0
		.amdhsa_exception_fp_ieee_div_zero 0
		.amdhsa_exception_fp_ieee_overflow 0
		.amdhsa_exception_fp_ieee_underflow 0
		.amdhsa_exception_fp_ieee_inexact 0
		.amdhsa_exception_int_div_zero 0
	.end_amdhsa_kernel
	.section	.text._ZL20rocblas_gbmvn_kernelILi64ELi16E24rocblas_internal_val_ptrI19rocblas_complex_numIdEEPKS2_PS2_EvbiiiiT1_T2_lllS8_lllS7_T3_llli,"axG",@progbits,_ZL20rocblas_gbmvn_kernelILi64ELi16E24rocblas_internal_val_ptrI19rocblas_complex_numIdEEPKS2_PS2_EvbiiiiT1_T2_lllS8_lllS7_T3_llli,comdat
.Lfunc_end25:
	.size	_ZL20rocblas_gbmvn_kernelILi64ELi16E24rocblas_internal_val_ptrI19rocblas_complex_numIdEEPKS2_PS2_EvbiiiiT1_T2_lllS8_lllS7_T3_llli, .Lfunc_end25-_ZL20rocblas_gbmvn_kernelILi64ELi16E24rocblas_internal_val_ptrI19rocblas_complex_numIdEEPKS2_PS2_EvbiiiiT1_T2_lllS8_lllS7_T3_llli
                                        ; -- End function
	.set _ZL20rocblas_gbmvn_kernelILi64ELi16E24rocblas_internal_val_ptrI19rocblas_complex_numIdEEPKS2_PS2_EvbiiiiT1_T2_lllS8_lllS7_T3_llli.num_vgpr, 38
	.set _ZL20rocblas_gbmvn_kernelILi64ELi16E24rocblas_internal_val_ptrI19rocblas_complex_numIdEEPKS2_PS2_EvbiiiiT1_T2_lllS8_lllS7_T3_llli.num_agpr, 0
	.set _ZL20rocblas_gbmvn_kernelILi64ELi16E24rocblas_internal_val_ptrI19rocblas_complex_numIdEEPKS2_PS2_EvbiiiiT1_T2_lllS8_lllS7_T3_llli.numbered_sgpr, 52
	.set _ZL20rocblas_gbmvn_kernelILi64ELi16E24rocblas_internal_val_ptrI19rocblas_complex_numIdEEPKS2_PS2_EvbiiiiT1_T2_lllS8_lllS7_T3_llli.num_named_barrier, 0
	.set _ZL20rocblas_gbmvn_kernelILi64ELi16E24rocblas_internal_val_ptrI19rocblas_complex_numIdEEPKS2_PS2_EvbiiiiT1_T2_lllS8_lllS7_T3_llli.private_seg_size, 0
	.set _ZL20rocblas_gbmvn_kernelILi64ELi16E24rocblas_internal_val_ptrI19rocblas_complex_numIdEEPKS2_PS2_EvbiiiiT1_T2_lllS8_lllS7_T3_llli.uses_vcc, 1
	.set _ZL20rocblas_gbmvn_kernelILi64ELi16E24rocblas_internal_val_ptrI19rocblas_complex_numIdEEPKS2_PS2_EvbiiiiT1_T2_lllS8_lllS7_T3_llli.uses_flat_scratch, 0
	.set _ZL20rocblas_gbmvn_kernelILi64ELi16E24rocblas_internal_val_ptrI19rocblas_complex_numIdEEPKS2_PS2_EvbiiiiT1_T2_lllS8_lllS7_T3_llli.has_dyn_sized_stack, 0
	.set _ZL20rocblas_gbmvn_kernelILi64ELi16E24rocblas_internal_val_ptrI19rocblas_complex_numIdEEPKS2_PS2_EvbiiiiT1_T2_lllS8_lllS7_T3_llli.has_recursion, 0
	.set _ZL20rocblas_gbmvn_kernelILi64ELi16E24rocblas_internal_val_ptrI19rocblas_complex_numIdEEPKS2_PS2_EvbiiiiT1_T2_lllS8_lllS7_T3_llli.has_indirect_call, 0
	.section	.AMDGPU.csdata,"",@progbits
; Kernel info:
; codeLenInByte = 1344
; TotalNumSgprs: 54
; NumVgprs: 38
; ScratchSize: 0
; MemoryBound: 0
; FloatMode: 240
; IeeeMode: 1
; LDSByteSize: 0 bytes/workgroup (compile time only)
; SGPRBlocks: 0
; VGPRBlocks: 2
; NumSGPRsForWavesPerEU: 54
; NumVGPRsForWavesPerEU: 38
; NamedBarCnt: 0
; Occupancy: 16
; WaveLimiterHint : 0
; COMPUTE_PGM_RSRC2:SCRATCH_EN: 0
; COMPUTE_PGM_RSRC2:USER_SGPR: 2
; COMPUTE_PGM_RSRC2:TRAP_HANDLER: 0
; COMPUTE_PGM_RSRC2:TGID_X_EN: 1
; COMPUTE_PGM_RSRC2:TGID_Y_EN: 0
; COMPUTE_PGM_RSRC2:TGID_Z_EN: 1
; COMPUTE_PGM_RSRC2:TIDIG_COMP_CNT: 1
	.section	.text._ZL20rocblas_gbmvt_kernelILi32ELi32E24rocblas_internal_val_ptrI19rocblas_complex_numIdEEPKS2_PS2_Evb18rocblas_operation_iiiiT1_T2_lllS9_lllS8_T3_llli,"axG",@progbits,_ZL20rocblas_gbmvt_kernelILi32ELi32E24rocblas_internal_val_ptrI19rocblas_complex_numIdEEPKS2_PS2_Evb18rocblas_operation_iiiiT1_T2_lllS9_lllS8_T3_llli,comdat
	.globl	_ZL20rocblas_gbmvt_kernelILi32ELi32E24rocblas_internal_val_ptrI19rocblas_complex_numIdEEPKS2_PS2_Evb18rocblas_operation_iiiiT1_T2_lllS9_lllS8_T3_llli ; -- Begin function _ZL20rocblas_gbmvt_kernelILi32ELi32E24rocblas_internal_val_ptrI19rocblas_complex_numIdEEPKS2_PS2_Evb18rocblas_operation_iiiiT1_T2_lllS9_lllS8_T3_llli
	.p2align	8
	.type	_ZL20rocblas_gbmvt_kernelILi32ELi32E24rocblas_internal_val_ptrI19rocblas_complex_numIdEEPKS2_PS2_Evb18rocblas_operation_iiiiT1_T2_lllS9_lllS8_T3_llli,@function
_ZL20rocblas_gbmvt_kernelILi32ELi32E24rocblas_internal_val_ptrI19rocblas_complex_numIdEEPKS2_PS2_Evb18rocblas_operation_iiiiT1_T2_lllS9_lllS8_T3_llli: ; @_ZL20rocblas_gbmvt_kernelILi32ELi32E24rocblas_internal_val_ptrI19rocblas_complex_numIdEEPKS2_PS2_Evb18rocblas_operation_iiiiT1_T2_lllS9_lllS8_T3_llli
; %bb.0:
	s_load_b32 s28, s[0:1], 0x98
	s_bfe_u32 s2, ttmp6, 0x40014
	s_lshr_b32 s3, ttmp7, 16
	s_add_co_i32 s2, s2, 1
	s_bfe_u32 s5, ttmp6, 0x40008
	s_mul_i32 s4, s3, s2
	s_getreg_b32 s2, hwreg(HW_REG_IB_STS2, 6, 4)
	s_add_co_i32 s5, s5, s4
	s_cmp_eq_u32 s2, 0
	s_mov_b32 s25, 0
	s_cselect_b32 s24, s3, s5
	s_wait_kmcnt 0x0
	s_cmp_ge_u32 s24, s28
	s_cbranch_scc1 .LBB26_26
; %bb.1:
	s_clause 0x3
	s_load_b128 s[20:23], s[0:1], 0x0
	s_load_b512 s[4:19], s[0:1], 0x58
	s_load_b64 s[26:27], s[0:1], 0x10
	s_load_b512 s[36:51], s[0:1], 0x18
	v_bfe_u32 v1, v0, 10, 10
	v_and_b32_e32 v28, 0x3ff, v0
	s_delay_alu instid0(VALU_DEP_1)
	v_dual_mov_b32 v17, 0 :: v_dual_lshlrev_b32 v16, 4, v28
	s_wait_kmcnt 0x0
	s_bitcmp1_b32 s20, 0
	s_cselect_b32 s0, -1, 0
	s_bfe_u32 s1, ttmp6, 0x4000c
	s_and_b32 s3, ttmp6, 15
	s_add_co_i32 s1, s1, 1
	s_lshl_b64 s[14:15], s[14:15], 4
	s_mul_i32 s1, ttmp9, s1
	s_xor_b32 s20, s0, -1
	s_add_co_i32 s3, s3, s1
	s_cmp_eq_u32 s2, 0
	v_sub_nc_u32_e32 v14, s27, v28
	s_cselect_b32 s0, ttmp9, s3
	s_cmp_eq_u32 s21, 0x71
	v_lshl_add_u32 v12, s0, 5, v1
	s_cselect_b32 s0, -1, 0
	s_lshl_b64 s[2:3], s[42:43], 4
	s_add_nc_u64 s[12:13], s[12:13], s[14:15]
	s_delay_alu instid0(VALU_DEP_1)
	v_dual_ashrrev_i32 v15, 31, v14 :: v_dual_ashrrev_i32 v13, 31, v12
	v_cmp_eq_u32_e64 s1, 0, v28
	s_lshl_b64 s[6:7], s[6:7], 4
	s_lshl_b64 s[14:15], s[4:5], 9
	v_mul_u64_e32 v[0:1], s[44:45], v[12:13]
	v_sub_nc_u64_e32 v[2:3], v[12:13], v[14:15]
	v_mul_u64_e32 v[4:5], s[16:17], v[12:13]
	s_add_co_i32 s16, s27, s26
	v_mbcnt_lo_u32_b32 v13, -1, 0
	s_delay_alu instid0(VALU_DEP_3) | instskip(SKIP_2) | instid1(VALU_DEP_4)
	v_mul_u64_e32 v[2:3], s[4:5], v[2:3]
	v_lshl_add_u64 v[0:1], v[0:1], 4, s[2:3]
	s_lshl_b64 s[2:3], s[50:51], 4
	v_lshl_add_u64 v[18:19], v[4:5], 4, s[12:13]
	s_add_nc_u64 s[2:3], s[48:49], s[2:3]
	s_lshl_b64 s[12:13], s[46:47], 4
	v_add_nc_u64_e32 v[0:1], v[0:1], v[16:17]
	s_delay_alu instid0(VALU_DEP_4) | instskip(SKIP_2) | instid1(VALU_DEP_4)
	v_lshl_add_u64 v[2:3], v[2:3], 4, s[2:3]
	v_cmp_ge_i32_e64 s2, s16, v28
	v_cmp_gt_i32_e64 s3, s23, v12
	v_add_nc_u64_e32 v[0:1], s[40:41], v[0:1]
	s_delay_alu instid0(VALU_DEP_4) | instskip(NEXT) | instid1(VALU_DEP_2)
	v_add_nc_u64_e32 v[22:23], 8, v[2:3]
	v_add_nc_u64_e32 v[20:21], 8, v[0:1]
	s_branch .LBB26_5
.LBB26_2:                               ;   in Loop: Header=BB26_5 Depth=1
	global_store_b128 v[4:5], v[8:11], off
.LBB26_3:                               ;   in Loop: Header=BB26_5 Depth=1
	s_wait_xcnt 0x0
	s_or_b32 exec_lo, exec_lo, s5
.LBB26_4:                               ;   in Loop: Header=BB26_5 Depth=1
	s_add_co_i32 s24, s24, 0x10000
	s_delay_alu instid0(SALU_CYCLE_1)
	s_cmp_lt_u32 s24, s28
	s_cbranch_scc0 .LBB26_26
.LBB26_5:                               ; =>This Loop Header: Depth=1
                                        ;     Child Loop BB26_18 Depth 2
	v_mov_b64_e32 v[6:7], s[38:39]
	v_mov_b64_e32 v[4:5], s[36:37]
	s_and_not1_b32 vcc_lo, exec_lo, s20
	s_cbranch_vccnz .LBB26_7
; %bb.6:                                ;   in Loop: Header=BB26_5 Depth=1
	global_load_b128 v[4:7], v17, s[36:37]
.LBB26_7:                               ;   in Loop: Header=BB26_5 Depth=1
	v_mov_b64_e32 v[2:3], s[10:11]
	v_mov_b64_e32 v[0:1], s[8:9]
	s_and_not1_b32 vcc_lo, exec_lo, s20
	s_cbranch_vccnz .LBB26_9
; %bb.8:                                ;   in Loop: Header=BB26_5 Depth=1
	global_load_b128 v[0:3], v17, s[8:9]
.LBB26_9:                               ;   in Loop: Header=BB26_5 Depth=1
	s_wait_loadcnt 0x0
	v_cmp_neq_f64_e32 vcc_lo, 0, v[4:5]
	v_cmp_neq_f64_e64 s4, 0, v[6:7]
	s_or_b32 s17, vcc_lo, s4
	s_mov_b32 s4, -1
	s_and_b32 vcc_lo, exec_lo, s17
	s_cbranch_vccz .LBB26_11
; %bb.10:                               ;   in Loop: Header=BB26_5 Depth=1
	s_and_not1_b32 vcc_lo, exec_lo, s4
	s_cbranch_vccnz .LBB26_4
	s_branch .LBB26_12
.LBB26_11:                              ;   in Loop: Header=BB26_5 Depth=1
	v_cmp_neq_f64_e32 vcc_lo, 1.0, v[0:1]
	v_cmp_neq_f64_e64 s4, 0, v[2:3]
	s_or_b32 s4, vcc_lo, s4
	s_delay_alu instid0(SALU_CYCLE_1)
	s_and_not1_b32 vcc_lo, exec_lo, s4
	s_cbranch_vccnz .LBB26_4
.LBB26_12:                              ;   in Loop: Header=BB26_5 Depth=1
	s_wait_xcnt 0x0
	s_and_saveexec_b32 s5, s3
	s_cbranch_execz .LBB26_3
; %bb.13:                               ;   in Loop: Header=BB26_5 Depth=1
	v_mov_b64_e32 v[10:11], 0
	v_mov_b64_e32 v[8:9], 0
	s_and_not1_b32 vcc_lo, exec_lo, s17
	s_cbranch_vccnz .LBB26_23
; %bb.14:                               ;   in Loop: Header=BB26_5 Depth=1
	v_mov_b64_e32 v[8:9], 0
	v_mov_b64_e32 v[10:11], 0
	s_and_saveexec_b32 s17, s2
	s_cbranch_execz .LBB26_22
; %bb.15:                               ;   in Loop: Header=BB26_5 Depth=1
	v_mad_nc_u64_u32 v[24:25], s12, s24, v[20:21]
	v_mad_nc_u64_u32 v[26:27], s6, s24, v[22:23]
	v_mov_b64_e32 v[8:9], 0
	v_mov_b64_e32 v[10:11], 0
	v_dual_mov_b32 v15, v14 :: v_dual_mov_b32 v16, v28
	s_mov_b32 s21, 0
	v_mad_u32 v25, s13, s24, v25
	v_mad_u32 v27, s7, s24, v27
	s_branch .LBB26_18
.LBB26_16:                              ;   in Loop: Header=BB26_18 Depth=2
	s_wait_xcnt 0x0
	s_or_b32 exec_lo, exec_lo, s4
.LBB26_17:                              ;   in Loop: Header=BB26_18 Depth=2
	s_delay_alu instid0(SALU_CYCLE_1) | instskip(SKIP_4) | instid1(VALU_DEP_4)
	s_or_b32 exec_lo, exec_lo, s23
	v_add_nc_u32_e32 v16, 32, v16
	v_add_nc_u64_e32 v[24:25], 0x200, v[24:25]
	v_add_nc_u64_e32 v[26:27], s[14:15], v[26:27]
	v_subrev_nc_u32_e32 v15, 32, v15
	v_cmp_lt_i32_e32 vcc_lo, s16, v16
	s_or_b32 s21, vcc_lo, s21
	s_delay_alu instid0(SALU_CYCLE_1)
	s_and_not1_b32 exec_lo, exec_lo, s21
	s_cbranch_execz .LBB26_21
.LBB26_18:                              ;   Parent Loop BB26_5 Depth=1
                                        ; =>  This Inner Loop Header: Depth=2
	v_add_nc_u32_e32 v29, s22, v15
	s_mov_b32 s23, exec_lo
	s_delay_alu instid0(VALU_DEP_1)
	v_cmpx_lt_i32_e64 v12, v29
	s_cbranch_execz .LBB26_17
; %bb.19:                               ;   in Loop: Header=BB26_18 Depth=2
	v_cmp_lt_i32_e32 vcc_lo, s27, v16
	v_cmp_ge_i32_e64 s4, v12, v15
	s_or_b32 s26, vcc_lo, s4
	s_delay_alu instid0(SALU_CYCLE_1)
	s_and_saveexec_b32 s4, s26
	s_cbranch_execz .LBB26_16
; %bb.20:                               ;   in Loop: Header=BB26_18 Depth=2
	global_load_b128 v[30:33], v[24:25], off offset:-8
	global_load_b128 v[34:37], v[26:27], off offset:-8
	s_wait_loadcnt 0x1
	v_xor_b32_e32 v29, 0x80000000, v33
	s_delay_alu instid0(VALU_DEP_1) | instskip(SKIP_1) | instid1(VALU_DEP_1)
	v_cndmask_b32_e64 v33, v33, v29, s0
	s_wait_loadcnt 0x0
	v_mul_f64_e32 v[38:39], v[32:33], v[36:37]
	v_mul_f64_e32 v[36:37], v[30:31], v[36:37]
	s_delay_alu instid0(VALU_DEP_2) | instskip(NEXT) | instid1(VALU_DEP_2)
	v_fma_f64 v[30:31], v[30:31], v[34:35], -v[38:39]
	v_fmac_f64_e32 v[36:37], v[32:33], v[34:35]
	s_delay_alu instid0(VALU_DEP_2) | instskip(NEXT) | instid1(VALU_DEP_2)
	v_add_f64_e32 v[10:11], v[10:11], v[30:31]
	v_add_f64_e32 v[8:9], v[8:9], v[36:37]
	s_branch .LBB26_16
.LBB26_21:                              ;   in Loop: Header=BB26_5 Depth=1
	s_or_b32 exec_lo, exec_lo, s21
.LBB26_22:                              ;   in Loop: Header=BB26_5 Depth=1
	s_delay_alu instid0(SALU_CYCLE_1)
	s_or_b32 exec_lo, exec_lo, s17
	v_lshl_or_b32 v15, v13, 2, 64
	v_cmp_gt_u32_e32 vcc_lo, 24, v13
	s_barrier_signal -1
	s_barrier_wait -1
	ds_bpermute_b32 v24, v15, v8
	ds_bpermute_b32 v25, v15, v9
	s_wait_dscnt 0x0
	v_add_f64_e32 v[8:9], v[8:9], v[24:25]
	ds_bpermute_b32 v24, v15, v10
	ds_bpermute_b32 v25, v15, v11
	v_cndmask_b32_e64 v15, 0, 8, vcc_lo
	v_cmp_gt_u32_e32 vcc_lo, 28, v13
	s_delay_alu instid0(VALU_DEP_2)
	v_add_lshl_u32 v15, v15, v13, 2
	s_wait_dscnt 0x0
	v_add_f64_e32 v[10:11], v[10:11], v[24:25]
	ds_bpermute_b32 v24, v15, v8
	ds_bpermute_b32 v25, v15, v9
	s_wait_dscnt 0x0
	v_add_f64_e32 v[8:9], v[8:9], v[24:25]
	ds_bpermute_b32 v24, v15, v10
	ds_bpermute_b32 v25, v15, v11
	v_cndmask_b32_e64 v15, 0, 4, vcc_lo
	v_cmp_gt_u32_e32 vcc_lo, 30, v13
	s_delay_alu instid0(VALU_DEP_2)
	v_add_lshl_u32 v15, v15, v13, 2
	s_wait_dscnt 0x0
	v_add_f64_e32 v[10:11], v[10:11], v[24:25]
	ds_bpermute_b32 v24, v15, v8
	ds_bpermute_b32 v25, v15, v9
	s_wait_dscnt 0x0
	v_add_f64_e32 v[8:9], v[8:9], v[24:25]
	ds_bpermute_b32 v24, v15, v10
	ds_bpermute_b32 v25, v15, v11
	v_cndmask_b32_e64 v15, 0, 2, vcc_lo
	v_cmp_ne_u32_e32 vcc_lo, 31, v13
	s_delay_alu instid0(VALU_DEP_2)
	v_add_lshl_u32 v15, v15, v13, 2
	s_wait_dscnt 0x0
	v_add_f64_e32 v[10:11], v[10:11], v[24:25]
	ds_bpermute_b32 v24, v15, v8
	ds_bpermute_b32 v25, v15, v9
	s_wait_dscnt 0x0
	v_add_f64_e32 v[8:9], v[8:9], v[24:25]
	ds_bpermute_b32 v24, v15, v10
	ds_bpermute_b32 v25, v15, v11
	v_add_co_ci_u32_e64 v15, null, 0, v13, vcc_lo
	s_wait_dscnt 0x0
	s_delay_alu instid0(VALU_DEP_1)
	v_dual_add_f64 v[10:11], v[10:11], v[24:25] :: v_dual_lshlrev_b32 v15, 2, v15
	ds_bpermute_b32 v24, v15, v8
	ds_bpermute_b32 v25, v15, v9
	s_wait_dscnt 0x0
	v_add_f64_e32 v[8:9], v[8:9], v[24:25]
	ds_bpermute_b32 v24, v15, v10
	ds_bpermute_b32 v25, v15, v11
	s_wait_dscnt 0x0
	v_add_f64_e32 v[24:25], v[10:11], v[24:25]
	v_mul_f64_e32 v[26:27], v[6:7], v[8:9]
	v_mul_f64_e32 v[10:11], v[4:5], v[8:9]
	s_delay_alu instid0(VALU_DEP_2) | instskip(NEXT) | instid1(VALU_DEP_2)
	v_fma_f64 v[8:9], v[4:5], v[24:25], -v[26:27]
	v_fmac_f64_e32 v[10:11], v[6:7], v[24:25]
.LBB26_23:                              ;   in Loop: Header=BB26_5 Depth=1
	s_and_b32 exec_lo, exec_lo, s1
	s_cbranch_execz .LBB26_3
; %bb.24:                               ;   in Loop: Header=BB26_5 Depth=1
	v_cmp_neq_f64_e32 vcc_lo, 0, v[0:1]
	v_cmp_neq_f64_e64 s4, 0, v[2:3]
	s_mul_u64 s[30:31], s[18:19], s[24:25]
	s_delay_alu instid0(SALU_CYCLE_1) | instskip(SKIP_1) | instid1(SALU_CYCLE_1)
	v_lshl_add_u64 v[4:5], s[30:31], 4, v[18:19]
	s_or_b32 s4, vcc_lo, s4
	s_and_not1_b32 vcc_lo, exec_lo, s4
	s_cbranch_vccnz .LBB26_2
; %bb.25:                               ;   in Loop: Header=BB26_5 Depth=1
	global_load_b128 v[24:27], v[4:5], off
	s_wait_loadcnt 0x0
	v_mul_f64_e32 v[6:7], v[2:3], v[26:27]
	v_mul_f64_e32 v[26:27], v[0:1], v[26:27]
	s_delay_alu instid0(VALU_DEP_2) | instskip(NEXT) | instid1(VALU_DEP_2)
	v_fma_f64 v[0:1], v[0:1], v[24:25], -v[6:7]
	v_fmac_f64_e32 v[26:27], v[2:3], v[24:25]
	s_delay_alu instid0(VALU_DEP_2) | instskip(NEXT) | instid1(VALU_DEP_2)
	v_add_f64_e32 v[8:9], v[8:9], v[0:1]
	v_add_f64_e32 v[10:11], v[10:11], v[26:27]
	s_branch .LBB26_2
.LBB26_26:
	s_endpgm
	.section	.rodata,"a",@progbits
	.p2align	6, 0x0
	.amdhsa_kernel _ZL20rocblas_gbmvt_kernelILi32ELi32E24rocblas_internal_val_ptrI19rocblas_complex_numIdEEPKS2_PS2_Evb18rocblas_operation_iiiiT1_T2_lllS9_lllS8_T3_llli
		.amdhsa_group_segment_fixed_size 0
		.amdhsa_private_segment_fixed_size 0
		.amdhsa_kernarg_size 156
		.amdhsa_user_sgpr_count 2
		.amdhsa_user_sgpr_dispatch_ptr 0
		.amdhsa_user_sgpr_queue_ptr 0
		.amdhsa_user_sgpr_kernarg_segment_ptr 1
		.amdhsa_user_sgpr_dispatch_id 0
		.amdhsa_user_sgpr_kernarg_preload_length 0
		.amdhsa_user_sgpr_kernarg_preload_offset 0
		.amdhsa_user_sgpr_private_segment_size 0
		.amdhsa_wavefront_size32 1
		.amdhsa_uses_dynamic_stack 0
		.amdhsa_enable_private_segment 0
		.amdhsa_system_sgpr_workgroup_id_x 1
		.amdhsa_system_sgpr_workgroup_id_y 0
		.amdhsa_system_sgpr_workgroup_id_z 1
		.amdhsa_system_sgpr_workgroup_info 0
		.amdhsa_system_vgpr_workitem_id 1
		.amdhsa_next_free_vgpr 40
		.amdhsa_next_free_sgpr 52
		.amdhsa_named_barrier_count 0
		.amdhsa_reserve_vcc 1
		.amdhsa_float_round_mode_32 0
		.amdhsa_float_round_mode_16_64 0
		.amdhsa_float_denorm_mode_32 3
		.amdhsa_float_denorm_mode_16_64 3
		.amdhsa_fp16_overflow 0
		.amdhsa_memory_ordered 1
		.amdhsa_forward_progress 1
		.amdhsa_inst_pref_size 11
		.amdhsa_round_robin_scheduling 0
		.amdhsa_exception_fp_ieee_invalid_op 0
		.amdhsa_exception_fp_denorm_src 0
		.amdhsa_exception_fp_ieee_div_zero 0
		.amdhsa_exception_fp_ieee_overflow 0
		.amdhsa_exception_fp_ieee_underflow 0
		.amdhsa_exception_fp_ieee_inexact 0
		.amdhsa_exception_int_div_zero 0
	.end_amdhsa_kernel
	.section	.text._ZL20rocblas_gbmvt_kernelILi32ELi32E24rocblas_internal_val_ptrI19rocblas_complex_numIdEEPKS2_PS2_Evb18rocblas_operation_iiiiT1_T2_lllS9_lllS8_T3_llli,"axG",@progbits,_ZL20rocblas_gbmvt_kernelILi32ELi32E24rocblas_internal_val_ptrI19rocblas_complex_numIdEEPKS2_PS2_Evb18rocblas_operation_iiiiT1_T2_lllS9_lllS8_T3_llli,comdat
.Lfunc_end26:
	.size	_ZL20rocblas_gbmvt_kernelILi32ELi32E24rocblas_internal_val_ptrI19rocblas_complex_numIdEEPKS2_PS2_Evb18rocblas_operation_iiiiT1_T2_lllS9_lllS8_T3_llli, .Lfunc_end26-_ZL20rocblas_gbmvt_kernelILi32ELi32E24rocblas_internal_val_ptrI19rocblas_complex_numIdEEPKS2_PS2_Evb18rocblas_operation_iiiiT1_T2_lllS9_lllS8_T3_llli
                                        ; -- End function
	.set _ZL20rocblas_gbmvt_kernelILi32ELi32E24rocblas_internal_val_ptrI19rocblas_complex_numIdEEPKS2_PS2_Evb18rocblas_operation_iiiiT1_T2_lllS9_lllS8_T3_llli.num_vgpr, 40
	.set _ZL20rocblas_gbmvt_kernelILi32ELi32E24rocblas_internal_val_ptrI19rocblas_complex_numIdEEPKS2_PS2_Evb18rocblas_operation_iiiiT1_T2_lllS9_lllS8_T3_llli.num_agpr, 0
	.set _ZL20rocblas_gbmvt_kernelILi32ELi32E24rocblas_internal_val_ptrI19rocblas_complex_numIdEEPKS2_PS2_Evb18rocblas_operation_iiiiT1_T2_lllS9_lllS8_T3_llli.numbered_sgpr, 52
	.set _ZL20rocblas_gbmvt_kernelILi32ELi32E24rocblas_internal_val_ptrI19rocblas_complex_numIdEEPKS2_PS2_Evb18rocblas_operation_iiiiT1_T2_lllS9_lllS8_T3_llli.num_named_barrier, 0
	.set _ZL20rocblas_gbmvt_kernelILi32ELi32E24rocblas_internal_val_ptrI19rocblas_complex_numIdEEPKS2_PS2_Evb18rocblas_operation_iiiiT1_T2_lllS9_lllS8_T3_llli.private_seg_size, 0
	.set _ZL20rocblas_gbmvt_kernelILi32ELi32E24rocblas_internal_val_ptrI19rocblas_complex_numIdEEPKS2_PS2_Evb18rocblas_operation_iiiiT1_T2_lllS9_lllS8_T3_llli.uses_vcc, 1
	.set _ZL20rocblas_gbmvt_kernelILi32ELi32E24rocblas_internal_val_ptrI19rocblas_complex_numIdEEPKS2_PS2_Evb18rocblas_operation_iiiiT1_T2_lllS9_lllS8_T3_llli.uses_flat_scratch, 0
	.set _ZL20rocblas_gbmvt_kernelILi32ELi32E24rocblas_internal_val_ptrI19rocblas_complex_numIdEEPKS2_PS2_Evb18rocblas_operation_iiiiT1_T2_lllS9_lllS8_T3_llli.has_dyn_sized_stack, 0
	.set _ZL20rocblas_gbmvt_kernelILi32ELi32E24rocblas_internal_val_ptrI19rocblas_complex_numIdEEPKS2_PS2_Evb18rocblas_operation_iiiiT1_T2_lllS9_lllS8_T3_llli.has_recursion, 0
	.set _ZL20rocblas_gbmvt_kernelILi32ELi32E24rocblas_internal_val_ptrI19rocblas_complex_numIdEEPKS2_PS2_Evb18rocblas_operation_iiiiT1_T2_lllS9_lllS8_T3_llli.has_indirect_call, 0
	.section	.AMDGPU.csdata,"",@progbits
; Kernel info:
; codeLenInByte = 1324
; TotalNumSgprs: 54
; NumVgprs: 40
; ScratchSize: 0
; MemoryBound: 0
; FloatMode: 240
; IeeeMode: 1
; LDSByteSize: 0 bytes/workgroup (compile time only)
; SGPRBlocks: 0
; VGPRBlocks: 2
; NumSGPRsForWavesPerEU: 54
; NumVGPRsForWavesPerEU: 40
; NamedBarCnt: 0
; Occupancy: 16
; WaveLimiterHint : 0
; COMPUTE_PGM_RSRC2:SCRATCH_EN: 0
; COMPUTE_PGM_RSRC2:USER_SGPR: 2
; COMPUTE_PGM_RSRC2:TRAP_HANDLER: 0
; COMPUTE_PGM_RSRC2:TGID_X_EN: 1
; COMPUTE_PGM_RSRC2:TGID_Y_EN: 0
; COMPUTE_PGM_RSRC2:TGID_Z_EN: 1
; COMPUTE_PGM_RSRC2:TIDIG_COMP_CNT: 1
	.section	.text._ZL20rocblas_gbmvt_kernelILi64ELi16E24rocblas_internal_val_ptrI19rocblas_complex_numIdEEPKS2_PS2_Evb18rocblas_operation_iiiiT1_T2_lllS9_lllS8_T3_llli,"axG",@progbits,_ZL20rocblas_gbmvt_kernelILi64ELi16E24rocblas_internal_val_ptrI19rocblas_complex_numIdEEPKS2_PS2_Evb18rocblas_operation_iiiiT1_T2_lllS9_lllS8_T3_llli,comdat
	.globl	_ZL20rocblas_gbmvt_kernelILi64ELi16E24rocblas_internal_val_ptrI19rocblas_complex_numIdEEPKS2_PS2_Evb18rocblas_operation_iiiiT1_T2_lllS9_lllS8_T3_llli ; -- Begin function _ZL20rocblas_gbmvt_kernelILi64ELi16E24rocblas_internal_val_ptrI19rocblas_complex_numIdEEPKS2_PS2_Evb18rocblas_operation_iiiiT1_T2_lllS9_lllS8_T3_llli
	.p2align	8
	.type	_ZL20rocblas_gbmvt_kernelILi64ELi16E24rocblas_internal_val_ptrI19rocblas_complex_numIdEEPKS2_PS2_Evb18rocblas_operation_iiiiT1_T2_lllS9_lllS8_T3_llli,@function
_ZL20rocblas_gbmvt_kernelILi64ELi16E24rocblas_internal_val_ptrI19rocblas_complex_numIdEEPKS2_PS2_Evb18rocblas_operation_iiiiT1_T2_lllS9_lllS8_T3_llli: ; @_ZL20rocblas_gbmvt_kernelILi64ELi16E24rocblas_internal_val_ptrI19rocblas_complex_numIdEEPKS2_PS2_Evb18rocblas_operation_iiiiT1_T2_lllS9_lllS8_T3_llli
; %bb.0:
	s_load_b32 s28, s[0:1], 0x98
	s_bfe_u32 s2, ttmp6, 0x40014
	s_lshr_b32 s3, ttmp7, 16
	s_add_co_i32 s2, s2, 1
	s_bfe_u32 s5, ttmp6, 0x40008
	s_mul_i32 s4, s3, s2
	s_getreg_b32 s2, hwreg(HW_REG_IB_STS2, 6, 4)
	s_add_co_i32 s5, s5, s4
	s_cmp_eq_u32 s2, 0
	s_mov_b32 s25, 0
	s_cselect_b32 s24, s3, s5
	s_wait_kmcnt 0x0
	s_cmp_ge_u32 s24, s28
	s_cbranch_scc1 .LBB27_26
; %bb.1:
	s_clause 0x3
	s_load_b128 s[20:23], s[0:1], 0x0
	s_load_b512 s[4:19], s[0:1], 0x58
	s_load_b64 s[26:27], s[0:1], 0x10
	s_load_b512 s[36:51], s[0:1], 0x18
	v_bfe_u32 v1, v0, 10, 10
	v_and_b32_e32 v28, 0x3ff, v0
	s_delay_alu instid0(VALU_DEP_1)
	v_dual_mov_b32 v17, 0 :: v_dual_lshlrev_b32 v16, 4, v28
	s_wait_kmcnt 0x0
	s_bitcmp1_b32 s20, 0
	s_cselect_b32 s0, -1, 0
	s_bfe_u32 s1, ttmp6, 0x4000c
	s_and_b32 s3, ttmp6, 15
	s_add_co_i32 s1, s1, 1
	s_lshl_b64 s[14:15], s[14:15], 4
	s_mul_i32 s1, ttmp9, s1
	s_xor_b32 s20, s0, -1
	s_add_co_i32 s3, s3, s1
	s_cmp_eq_u32 s2, 0
	v_sub_nc_u32_e32 v14, s27, v28
	s_cselect_b32 s0, ttmp9, s3
	s_cmp_eq_u32 s21, 0x71
	v_lshl_add_u32 v12, s0, 4, v1
	s_cselect_b32 s0, -1, 0
	s_lshl_b64 s[2:3], s[42:43], 4
	s_add_nc_u64 s[12:13], s[12:13], s[14:15]
	s_delay_alu instid0(VALU_DEP_1)
	v_dual_ashrrev_i32 v15, 31, v14 :: v_dual_ashrrev_i32 v13, 31, v12
	v_cmp_eq_u32_e64 s1, 0, v28
	s_lshl_b64 s[6:7], s[6:7], 4
	s_lshl_b64 s[14:15], s[4:5], 10
	v_mul_u64_e32 v[0:1], s[44:45], v[12:13]
	v_sub_nc_u64_e32 v[2:3], v[12:13], v[14:15]
	v_mul_u64_e32 v[4:5], s[16:17], v[12:13]
	s_add_co_i32 s16, s27, s26
	v_mbcnt_lo_u32_b32 v13, -1, 0
	s_delay_alu instid0(VALU_DEP_3) | instskip(SKIP_2) | instid1(VALU_DEP_4)
	v_mul_u64_e32 v[2:3], s[4:5], v[2:3]
	v_lshl_add_u64 v[0:1], v[0:1], 4, s[2:3]
	s_lshl_b64 s[2:3], s[50:51], 4
	v_lshl_add_u64 v[18:19], v[4:5], 4, s[12:13]
	s_add_nc_u64 s[2:3], s[48:49], s[2:3]
	s_lshl_b64 s[12:13], s[46:47], 4
	v_add_nc_u64_e32 v[0:1], v[0:1], v[16:17]
	s_delay_alu instid0(VALU_DEP_4) | instskip(SKIP_2) | instid1(VALU_DEP_4)
	v_lshl_add_u64 v[2:3], v[2:3], 4, s[2:3]
	v_cmp_ge_i32_e64 s2, s16, v28
	v_cmp_gt_i32_e64 s3, s23, v12
	v_add_nc_u64_e32 v[0:1], s[40:41], v[0:1]
	s_delay_alu instid0(VALU_DEP_4) | instskip(NEXT) | instid1(VALU_DEP_2)
	v_add_nc_u64_e32 v[22:23], 8, v[2:3]
	v_add_nc_u64_e32 v[20:21], 8, v[0:1]
	s_branch .LBB27_5
.LBB27_2:                               ;   in Loop: Header=BB27_5 Depth=1
	global_store_b128 v[4:5], v[8:11], off
.LBB27_3:                               ;   in Loop: Header=BB27_5 Depth=1
	s_wait_xcnt 0x0
	s_or_b32 exec_lo, exec_lo, s5
.LBB27_4:                               ;   in Loop: Header=BB27_5 Depth=1
	s_add_co_i32 s24, s24, 0x10000
	s_delay_alu instid0(SALU_CYCLE_1)
	s_cmp_lt_u32 s24, s28
	s_cbranch_scc0 .LBB27_26
.LBB27_5:                               ; =>This Loop Header: Depth=1
                                        ;     Child Loop BB27_18 Depth 2
	v_mov_b64_e32 v[6:7], s[38:39]
	v_mov_b64_e32 v[4:5], s[36:37]
	s_and_not1_b32 vcc_lo, exec_lo, s20
	s_cbranch_vccnz .LBB27_7
; %bb.6:                                ;   in Loop: Header=BB27_5 Depth=1
	global_load_b128 v[4:7], v17, s[36:37]
.LBB27_7:                               ;   in Loop: Header=BB27_5 Depth=1
	v_mov_b64_e32 v[2:3], s[10:11]
	v_mov_b64_e32 v[0:1], s[8:9]
	s_and_not1_b32 vcc_lo, exec_lo, s20
	s_cbranch_vccnz .LBB27_9
; %bb.8:                                ;   in Loop: Header=BB27_5 Depth=1
	global_load_b128 v[0:3], v17, s[8:9]
.LBB27_9:                               ;   in Loop: Header=BB27_5 Depth=1
	s_wait_loadcnt 0x0
	v_cmp_neq_f64_e32 vcc_lo, 0, v[4:5]
	v_cmp_neq_f64_e64 s4, 0, v[6:7]
	s_or_b32 s17, vcc_lo, s4
	s_mov_b32 s4, -1
	s_and_b32 vcc_lo, exec_lo, s17
	s_cbranch_vccz .LBB27_11
; %bb.10:                               ;   in Loop: Header=BB27_5 Depth=1
	s_and_not1_b32 vcc_lo, exec_lo, s4
	s_cbranch_vccnz .LBB27_4
	s_branch .LBB27_12
.LBB27_11:                              ;   in Loop: Header=BB27_5 Depth=1
	v_cmp_neq_f64_e32 vcc_lo, 1.0, v[0:1]
	v_cmp_neq_f64_e64 s4, 0, v[2:3]
	s_or_b32 s4, vcc_lo, s4
	s_delay_alu instid0(SALU_CYCLE_1)
	s_and_not1_b32 vcc_lo, exec_lo, s4
	s_cbranch_vccnz .LBB27_4
.LBB27_12:                              ;   in Loop: Header=BB27_5 Depth=1
	s_wait_xcnt 0x0
	s_and_saveexec_b32 s5, s3
	s_cbranch_execz .LBB27_3
; %bb.13:                               ;   in Loop: Header=BB27_5 Depth=1
	v_mov_b64_e32 v[10:11], 0
	v_mov_b64_e32 v[8:9], 0
	s_and_not1_b32 vcc_lo, exec_lo, s17
	s_cbranch_vccnz .LBB27_23
; %bb.14:                               ;   in Loop: Header=BB27_5 Depth=1
	v_mov_b64_e32 v[8:9], 0
	v_mov_b64_e32 v[10:11], 0
	s_and_saveexec_b32 s17, s2
	s_cbranch_execz .LBB27_22
; %bb.15:                               ;   in Loop: Header=BB27_5 Depth=1
	v_mad_nc_u64_u32 v[24:25], s12, s24, v[20:21]
	v_mad_nc_u64_u32 v[26:27], s6, s24, v[22:23]
	v_mov_b64_e32 v[8:9], 0
	v_mov_b64_e32 v[10:11], 0
	v_dual_mov_b32 v15, v14 :: v_dual_mov_b32 v16, v28
	s_mov_b32 s21, 0
	v_mad_u32 v25, s13, s24, v25
	v_mad_u32 v27, s7, s24, v27
	s_branch .LBB27_18
.LBB27_16:                              ;   in Loop: Header=BB27_18 Depth=2
	s_wait_xcnt 0x0
	s_or_b32 exec_lo, exec_lo, s4
.LBB27_17:                              ;   in Loop: Header=BB27_18 Depth=2
	s_delay_alu instid0(SALU_CYCLE_1) | instskip(SKIP_4) | instid1(VALU_DEP_4)
	s_or_b32 exec_lo, exec_lo, s23
	v_add_nc_u32_e32 v16, 64, v16
	v_add_nc_u64_e32 v[24:25], 0x400, v[24:25]
	v_add_nc_u64_e32 v[26:27], s[14:15], v[26:27]
	v_subrev_nc_u32_e32 v15, 64, v15
	v_cmp_lt_i32_e32 vcc_lo, s16, v16
	s_or_b32 s21, vcc_lo, s21
	s_delay_alu instid0(SALU_CYCLE_1)
	s_and_not1_b32 exec_lo, exec_lo, s21
	s_cbranch_execz .LBB27_21
.LBB27_18:                              ;   Parent Loop BB27_5 Depth=1
                                        ; =>  This Inner Loop Header: Depth=2
	v_add_nc_u32_e32 v29, s22, v15
	s_mov_b32 s23, exec_lo
	s_delay_alu instid0(VALU_DEP_1)
	v_cmpx_lt_i32_e64 v12, v29
	s_cbranch_execz .LBB27_17
; %bb.19:                               ;   in Loop: Header=BB27_18 Depth=2
	v_cmp_lt_i32_e32 vcc_lo, s27, v16
	v_cmp_ge_i32_e64 s4, v12, v15
	s_or_b32 s26, vcc_lo, s4
	s_delay_alu instid0(SALU_CYCLE_1)
	s_and_saveexec_b32 s4, s26
	s_cbranch_execz .LBB27_16
; %bb.20:                               ;   in Loop: Header=BB27_18 Depth=2
	global_load_b128 v[30:33], v[24:25], off offset:-8
	global_load_b128 v[34:37], v[26:27], off offset:-8
	s_wait_loadcnt 0x1
	v_xor_b32_e32 v29, 0x80000000, v33
	s_delay_alu instid0(VALU_DEP_1) | instskip(SKIP_1) | instid1(VALU_DEP_1)
	v_cndmask_b32_e64 v33, v33, v29, s0
	s_wait_loadcnt 0x0
	v_mul_f64_e32 v[38:39], v[32:33], v[36:37]
	v_mul_f64_e32 v[36:37], v[30:31], v[36:37]
	s_delay_alu instid0(VALU_DEP_2) | instskip(NEXT) | instid1(VALU_DEP_2)
	v_fma_f64 v[30:31], v[30:31], v[34:35], -v[38:39]
	v_fmac_f64_e32 v[36:37], v[32:33], v[34:35]
	s_delay_alu instid0(VALU_DEP_2) | instskip(NEXT) | instid1(VALU_DEP_2)
	v_add_f64_e32 v[10:11], v[10:11], v[30:31]
	v_add_f64_e32 v[8:9], v[8:9], v[36:37]
	s_branch .LBB27_16
.LBB27_21:                              ;   in Loop: Header=BB27_5 Depth=1
	s_or_b32 exec_lo, exec_lo, s21
.LBB27_22:                              ;   in Loop: Header=BB27_5 Depth=1
	s_delay_alu instid0(SALU_CYCLE_1)
	s_or_b32 exec_lo, exec_lo, s17
	v_lshlrev_b32_e32 v15, 2, v13
	v_cmp_gt_u32_e32 vcc_lo, 24, v13
	s_barrier_signal -1
	s_barrier_wait -1
	ds_bpermute_b32 v24, v15, v8
	ds_bpermute_b32 v25, v15, v9
	s_wait_dscnt 0x0
	v_add_f64_e32 v[8:9], v[8:9], v[24:25]
	ds_bpermute_b32 v24, v15, v10
	ds_bpermute_b32 v25, v15, v11
	s_wait_dscnt 0x0
	v_dual_add_f64 v[10:11], v[10:11], v[24:25] :: v_dual_bitop2_b32 v15, 64, v15 bitop3:0x54
	ds_bpermute_b32 v24, v15, v8
	ds_bpermute_b32 v25, v15, v9
	s_wait_dscnt 0x0
	v_add_f64_e32 v[8:9], v[8:9], v[24:25]
	ds_bpermute_b32 v24, v15, v10
	ds_bpermute_b32 v25, v15, v11
	v_cndmask_b32_e64 v15, 0, 8, vcc_lo
	v_cmp_gt_u32_e32 vcc_lo, 28, v13
	s_delay_alu instid0(VALU_DEP_2)
	v_add_lshl_u32 v15, v15, v13, 2
	s_wait_dscnt 0x0
	v_add_f64_e32 v[10:11], v[10:11], v[24:25]
	ds_bpermute_b32 v24, v15, v8
	ds_bpermute_b32 v25, v15, v9
	s_wait_dscnt 0x0
	v_add_f64_e32 v[8:9], v[8:9], v[24:25]
	ds_bpermute_b32 v24, v15, v10
	ds_bpermute_b32 v25, v15, v11
	v_cndmask_b32_e64 v15, 0, 4, vcc_lo
	v_cmp_gt_u32_e32 vcc_lo, 30, v13
	s_delay_alu instid0(VALU_DEP_2)
	v_add_lshl_u32 v15, v15, v13, 2
	s_wait_dscnt 0x0
	v_add_f64_e32 v[10:11], v[10:11], v[24:25]
	ds_bpermute_b32 v24, v15, v8
	ds_bpermute_b32 v25, v15, v9
	s_wait_dscnt 0x0
	v_add_f64_e32 v[8:9], v[8:9], v[24:25]
	ds_bpermute_b32 v24, v15, v10
	ds_bpermute_b32 v25, v15, v11
	v_cndmask_b32_e64 v15, 0, 2, vcc_lo
	v_cmp_ne_u32_e32 vcc_lo, 31, v13
	s_delay_alu instid0(VALU_DEP_2)
	v_add_lshl_u32 v15, v15, v13, 2
	s_wait_dscnt 0x0
	v_add_f64_e32 v[10:11], v[10:11], v[24:25]
	ds_bpermute_b32 v24, v15, v8
	ds_bpermute_b32 v25, v15, v9
	s_wait_dscnt 0x0
	v_add_f64_e32 v[8:9], v[8:9], v[24:25]
	ds_bpermute_b32 v24, v15, v10
	ds_bpermute_b32 v25, v15, v11
	v_add_co_ci_u32_e64 v15, null, 0, v13, vcc_lo
	s_wait_dscnt 0x0
	s_delay_alu instid0(VALU_DEP_1)
	v_dual_add_f64 v[10:11], v[10:11], v[24:25] :: v_dual_lshlrev_b32 v15, 2, v15
	ds_bpermute_b32 v24, v15, v8
	ds_bpermute_b32 v25, v15, v9
	s_wait_dscnt 0x0
	v_add_f64_e32 v[8:9], v[8:9], v[24:25]
	ds_bpermute_b32 v24, v15, v10
	ds_bpermute_b32 v25, v15, v11
	s_wait_dscnt 0x0
	v_add_f64_e32 v[24:25], v[10:11], v[24:25]
	v_mul_f64_e32 v[26:27], v[6:7], v[8:9]
	v_mul_f64_e32 v[10:11], v[4:5], v[8:9]
	s_delay_alu instid0(VALU_DEP_2) | instskip(NEXT) | instid1(VALU_DEP_2)
	v_fma_f64 v[8:9], v[4:5], v[24:25], -v[26:27]
	v_fmac_f64_e32 v[10:11], v[6:7], v[24:25]
.LBB27_23:                              ;   in Loop: Header=BB27_5 Depth=1
	s_and_b32 exec_lo, exec_lo, s1
	s_cbranch_execz .LBB27_3
; %bb.24:                               ;   in Loop: Header=BB27_5 Depth=1
	v_cmp_neq_f64_e32 vcc_lo, 0, v[0:1]
	v_cmp_neq_f64_e64 s4, 0, v[2:3]
	s_mul_u64 s[30:31], s[18:19], s[24:25]
	s_delay_alu instid0(SALU_CYCLE_1) | instskip(SKIP_1) | instid1(SALU_CYCLE_1)
	v_lshl_add_u64 v[4:5], s[30:31], 4, v[18:19]
	s_or_b32 s4, vcc_lo, s4
	s_and_not1_b32 vcc_lo, exec_lo, s4
	s_cbranch_vccnz .LBB27_2
; %bb.25:                               ;   in Loop: Header=BB27_5 Depth=1
	global_load_b128 v[24:27], v[4:5], off
	s_wait_loadcnt 0x0
	v_mul_f64_e32 v[6:7], v[2:3], v[26:27]
	v_mul_f64_e32 v[26:27], v[0:1], v[26:27]
	s_delay_alu instid0(VALU_DEP_2) | instskip(NEXT) | instid1(VALU_DEP_2)
	v_fma_f64 v[0:1], v[0:1], v[24:25], -v[6:7]
	v_fmac_f64_e32 v[26:27], v[2:3], v[24:25]
	s_delay_alu instid0(VALU_DEP_2) | instskip(NEXT) | instid1(VALU_DEP_2)
	v_add_f64_e32 v[8:9], v[8:9], v[0:1]
	v_add_f64_e32 v[10:11], v[10:11], v[26:27]
	s_branch .LBB27_2
.LBB27_26:
	s_endpgm
	.section	.rodata,"a",@progbits
	.p2align	6, 0x0
	.amdhsa_kernel _ZL20rocblas_gbmvt_kernelILi64ELi16E24rocblas_internal_val_ptrI19rocblas_complex_numIdEEPKS2_PS2_Evb18rocblas_operation_iiiiT1_T2_lllS9_lllS8_T3_llli
		.amdhsa_group_segment_fixed_size 0
		.amdhsa_private_segment_fixed_size 0
		.amdhsa_kernarg_size 156
		.amdhsa_user_sgpr_count 2
		.amdhsa_user_sgpr_dispatch_ptr 0
		.amdhsa_user_sgpr_queue_ptr 0
		.amdhsa_user_sgpr_kernarg_segment_ptr 1
		.amdhsa_user_sgpr_dispatch_id 0
		.amdhsa_user_sgpr_kernarg_preload_length 0
		.amdhsa_user_sgpr_kernarg_preload_offset 0
		.amdhsa_user_sgpr_private_segment_size 0
		.amdhsa_wavefront_size32 1
		.amdhsa_uses_dynamic_stack 0
		.amdhsa_enable_private_segment 0
		.amdhsa_system_sgpr_workgroup_id_x 1
		.amdhsa_system_sgpr_workgroup_id_y 0
		.amdhsa_system_sgpr_workgroup_id_z 1
		.amdhsa_system_sgpr_workgroup_info 0
		.amdhsa_system_vgpr_workitem_id 1
		.amdhsa_next_free_vgpr 40
		.amdhsa_next_free_sgpr 52
		.amdhsa_named_barrier_count 0
		.amdhsa_reserve_vcc 1
		.amdhsa_float_round_mode_32 0
		.amdhsa_float_round_mode_16_64 0
		.amdhsa_float_denorm_mode_32 3
		.amdhsa_float_denorm_mode_16_64 3
		.amdhsa_fp16_overflow 0
		.amdhsa_memory_ordered 1
		.amdhsa_forward_progress 1
		.amdhsa_inst_pref_size 11
		.amdhsa_round_robin_scheduling 0
		.amdhsa_exception_fp_ieee_invalid_op 0
		.amdhsa_exception_fp_denorm_src 0
		.amdhsa_exception_fp_ieee_div_zero 0
		.amdhsa_exception_fp_ieee_overflow 0
		.amdhsa_exception_fp_ieee_underflow 0
		.amdhsa_exception_fp_ieee_inexact 0
		.amdhsa_exception_int_div_zero 0
	.end_amdhsa_kernel
	.section	.text._ZL20rocblas_gbmvt_kernelILi64ELi16E24rocblas_internal_val_ptrI19rocblas_complex_numIdEEPKS2_PS2_Evb18rocblas_operation_iiiiT1_T2_lllS9_lllS8_T3_llli,"axG",@progbits,_ZL20rocblas_gbmvt_kernelILi64ELi16E24rocblas_internal_val_ptrI19rocblas_complex_numIdEEPKS2_PS2_Evb18rocblas_operation_iiiiT1_T2_lllS9_lllS8_T3_llli,comdat
.Lfunc_end27:
	.size	_ZL20rocblas_gbmvt_kernelILi64ELi16E24rocblas_internal_val_ptrI19rocblas_complex_numIdEEPKS2_PS2_Evb18rocblas_operation_iiiiT1_T2_lllS9_lllS8_T3_llli, .Lfunc_end27-_ZL20rocblas_gbmvt_kernelILi64ELi16E24rocblas_internal_val_ptrI19rocblas_complex_numIdEEPKS2_PS2_Evb18rocblas_operation_iiiiT1_T2_lllS9_lllS8_T3_llli
                                        ; -- End function
	.set _ZL20rocblas_gbmvt_kernelILi64ELi16E24rocblas_internal_val_ptrI19rocblas_complex_numIdEEPKS2_PS2_Evb18rocblas_operation_iiiiT1_T2_lllS9_lllS8_T3_llli.num_vgpr, 40
	.set _ZL20rocblas_gbmvt_kernelILi64ELi16E24rocblas_internal_val_ptrI19rocblas_complex_numIdEEPKS2_PS2_Evb18rocblas_operation_iiiiT1_T2_lllS9_lllS8_T3_llli.num_agpr, 0
	.set _ZL20rocblas_gbmvt_kernelILi64ELi16E24rocblas_internal_val_ptrI19rocblas_complex_numIdEEPKS2_PS2_Evb18rocblas_operation_iiiiT1_T2_lllS9_lllS8_T3_llli.numbered_sgpr, 52
	.set _ZL20rocblas_gbmvt_kernelILi64ELi16E24rocblas_internal_val_ptrI19rocblas_complex_numIdEEPKS2_PS2_Evb18rocblas_operation_iiiiT1_T2_lllS9_lllS8_T3_llli.num_named_barrier, 0
	.set _ZL20rocblas_gbmvt_kernelILi64ELi16E24rocblas_internal_val_ptrI19rocblas_complex_numIdEEPKS2_PS2_Evb18rocblas_operation_iiiiT1_T2_lllS9_lllS8_T3_llli.private_seg_size, 0
	.set _ZL20rocblas_gbmvt_kernelILi64ELi16E24rocblas_internal_val_ptrI19rocblas_complex_numIdEEPKS2_PS2_Evb18rocblas_operation_iiiiT1_T2_lllS9_lllS8_T3_llli.uses_vcc, 1
	.set _ZL20rocblas_gbmvt_kernelILi64ELi16E24rocblas_internal_val_ptrI19rocblas_complex_numIdEEPKS2_PS2_Evb18rocblas_operation_iiiiT1_T2_lllS9_lllS8_T3_llli.uses_flat_scratch, 0
	.set _ZL20rocblas_gbmvt_kernelILi64ELi16E24rocblas_internal_val_ptrI19rocblas_complex_numIdEEPKS2_PS2_Evb18rocblas_operation_iiiiT1_T2_lllS9_lllS8_T3_llli.has_dyn_sized_stack, 0
	.set _ZL20rocblas_gbmvt_kernelILi64ELi16E24rocblas_internal_val_ptrI19rocblas_complex_numIdEEPKS2_PS2_Evb18rocblas_operation_iiiiT1_T2_lllS9_lllS8_T3_llli.has_recursion, 0
	.set _ZL20rocblas_gbmvt_kernelILi64ELi16E24rocblas_internal_val_ptrI19rocblas_complex_numIdEEPKS2_PS2_Evb18rocblas_operation_iiiiT1_T2_lllS9_lllS8_T3_llli.has_indirect_call, 0
	.section	.AMDGPU.csdata,"",@progbits
; Kernel info:
; codeLenInByte = 1376
; TotalNumSgprs: 54
; NumVgprs: 40
; ScratchSize: 0
; MemoryBound: 0
; FloatMode: 240
; IeeeMode: 1
; LDSByteSize: 0 bytes/workgroup (compile time only)
; SGPRBlocks: 0
; VGPRBlocks: 2
; NumSGPRsForWavesPerEU: 54
; NumVGPRsForWavesPerEU: 40
; NamedBarCnt: 0
; Occupancy: 16
; WaveLimiterHint : 0
; COMPUTE_PGM_RSRC2:SCRATCH_EN: 0
; COMPUTE_PGM_RSRC2:USER_SGPR: 2
; COMPUTE_PGM_RSRC2:TRAP_HANDLER: 0
; COMPUTE_PGM_RSRC2:TGID_X_EN: 1
; COMPUTE_PGM_RSRC2:TGID_Y_EN: 0
; COMPUTE_PGM_RSRC2:TGID_Z_EN: 1
; COMPUTE_PGM_RSRC2:TIDIG_COMP_CNT: 1
	.section	.text._ZL20rocblas_gbmvn_kernelILi32ELi32E24rocblas_internal_val_ptrIfEPKPKfPKPfEvbiiiiT1_T2_lllSA_lllS9_T3_llli,"axG",@progbits,_ZL20rocblas_gbmvn_kernelILi32ELi32E24rocblas_internal_val_ptrIfEPKPKfPKPfEvbiiiiT1_T2_lllSA_lllS9_T3_llli,comdat
	.globl	_ZL20rocblas_gbmvn_kernelILi32ELi32E24rocblas_internal_val_ptrIfEPKPKfPKPfEvbiiiiT1_T2_lllSA_lllS9_T3_llli ; -- Begin function _ZL20rocblas_gbmvn_kernelILi32ELi32E24rocblas_internal_val_ptrIfEPKPKfPKPfEvbiiiiT1_T2_lllSA_lllS9_T3_llli
	.p2align	8
	.type	_ZL20rocblas_gbmvn_kernelILi32ELi32E24rocblas_internal_val_ptrIfEPKPKfPKPfEvbiiiiT1_T2_lllSA_lllS9_T3_llli,@function
_ZL20rocblas_gbmvn_kernelILi32ELi32E24rocblas_internal_val_ptrIfEPKPKfPKPfEvbiiiiT1_T2_lllSA_lllS9_T3_llli: ; @_ZL20rocblas_gbmvn_kernelILi32ELi32E24rocblas_internal_val_ptrIfEPKPKfPKPfEvbiiiiT1_T2_lllSA_lllS9_T3_llli
; %bb.0:
	s_load_b256 s[4:11], s[2:3], 0x18
	s_load_b64 s[20:21], s[0:1], 0x4
	s_load_b256 s[12:19], s[2:3], 0x60
	v_bfe_u32 v1, v0, 10, 10
	s_load_b32 s28, s[2:3], 0x88
	v_and_b32_e32 v6, 0x3ff, v0
	s_wait_xcnt 0x0
	s_lshr_b32 s1, ttmp7, 16
	v_bfe_u32 v0, v0, 20, 10
	s_wait_kmcnt 0x0
	v_dual_mov_b32 v2, s4 :: v_dual_mov_b32 v3, s5
	v_mul_u32_u24_e32 v5, s21, v1
	s_lshr_b32 s0, s20, 16
	s_bfe_u32 s5, ttmp6, 0x40008
	s_mul_i32 s0, s0, s21
	v_mov_b32_e32 v4, s12
	v_mad_u32 v7, s0, v6, v5
	s_bfe_u32 s0, ttmp6, 0x40014
	v_mov_b32_e32 v5, s13
	s_add_co_i32 s0, s0, 1
	s_delay_alu instid0(SALU_CYCLE_1) | instskip(SKIP_4) | instid1(VALU_DEP_2)
	s_mul_i32 s4, s1, s0
	s_getreg_b32 s0, hwreg(HW_REG_IB_STS2, 6, 4)
	s_add_co_i32 s5, s5, s4
	s_cmp_eq_u32 s0, 0
	s_cselect_b32 s4, s1, s5
	v_add_lshl_u32 v16, v7, v0, 3
	s_cmp_ge_u32 s4, s28
	s_mov_b32 s5, 0
	ds_store_2addr_stride64_b64 v16, v[4:5], v[2:3] offset1:16
	s_cbranch_scc1 .LBB28_31
; %bb.1:
	s_clause 0x3
	s_load_b128 s[20:23], s[2:3], 0x0
	s_load_b32 s1, s[2:3], 0x10
	s_load_b64 s[30:31], s[2:3], 0x50
	s_load_b128 s[24:27], s[2:3], 0x40
	v_mbcnt_lo_u32_b32 v17, -1, 0
	v_mov_b32_e32 v5, 0
	s_delay_alu instid0(VALU_DEP_2)
	v_lshl_or_b32 v18, v17, 2, 64
	s_wait_kmcnt 0x0
	s_bitcmp1_b32 s20, 0
	s_cselect_b32 s12, -1, 0
	s_bfe_u32 s13, ttmp6, 0x4000c
	s_and_b32 s20, ttmp6, 15
	s_add_co_i32 s13, s13, 1
	s_xor_b32 s29, s12, -1
	s_mul_i32 s13, ttmp9, s13
	s_delay_alu instid0(SALU_CYCLE_1)
	s_add_co_i32 s20, s20, s13
	s_cmp_eq_u32 s0, 0
	s_mov_b64 s[12:13], 0xffffffffffffffe0
	s_cselect_b32 s0, ttmp9, s20
	s_lshl_b64 s[8:9], s[8:9], 2
	v_lshl_add_u32 v8, s0, 5, v1
	v_cmp_eq_u32_e64 s0, 0, v6
	s_delay_alu instid0(VALU_DEP_2) | instskip(SKIP_1) | instid1(VALU_DEP_2)
	v_subrev_nc_u32_e32 v0, s23, v8
	v_dual_ashrrev_i32 v9, 31, v8 :: v_dual_min_i32 v4, s23, v8
	v_max_i32_e32 v0, 0, v0
	s_delay_alu instid0(VALU_DEP_2) | instskip(SKIP_1) | instid1(VALU_DEP_2)
	v_mul_u64_e32 v[2:3], s[18:19], v[8:9]
	s_lshl_b64 s[18:19], s[10:11], 7
	v_add_nc_u32_e32 v0, v0, v6
	s_delay_alu instid0(VALU_DEP_1) | instskip(NEXT) | instid1(VALU_DEP_1)
	v_ashrrev_i32_e32 v1, 31, v0
	v_mul_u64_e32 v[10:11], s[30:31], v[0:1]
	v_mul_u64_e32 v[12:13], s[10:11], v[0:1]
	v_sub_nc_u32_e32 v1, s1, v6
	v_cmp_gt_i32_e64 s1, s21, v8
	s_mov_b64 s[20:21], 0xffffffffffffff80
	s_lshl_b64 s[10:11], s[30:31], 7
	s_add_nc_u64 s[18:19], s[18:19], s[20:21]
	v_add_nc_u32_e32 v4, v1, v4
	v_add_nc_u32_e32 v1, 0x2000, v16
	s_delay_alu instid0(VALU_DEP_2) | instskip(SKIP_2) | instid1(VALU_DEP_3)
	v_lshlrev_b64_e32 v[14:15], 2, v[4:5]
	v_cmp_lt_i32_e64 s2, -1, v4
	v_lshlrev_b64_e32 v[6:7], 2, v[10:11]
	v_lshl_add_u64 v[8:9], v[12:13], 2, v[14:15]
	s_branch .LBB28_4
.LBB28_2:                               ;   in Loop: Header=BB28_4 Depth=1
	s_wait_xcnt 0x0
	s_or_b32 exec_lo, exec_lo, s3
	flat_store_b32 v[10:11], v21
.LBB28_3:                               ;   in Loop: Header=BB28_4 Depth=1
	s_wait_xcnt 0x0
	s_or_b32 exec_lo, exec_lo, s23
	s_add_co_i32 s4, s4, 0x10000
	s_delay_alu instid0(SALU_CYCLE_1)
	s_cmp_lt_u32 s4, s28
	s_cbranch_scc0 .LBB28_31
.LBB28_4:                               ; =>This Loop Header: Depth=1
                                        ;     Child Loop BB28_24 Depth 2
	s_and_b32 vcc_lo, exec_lo, s29
	s_mov_b32 s3, -1
                                        ; implicit-def: $vgpr19
	s_cbranch_vccnz .LBB28_15
; %bb.5:                                ;   in Loop: Header=BB28_4 Depth=1
	s_and_not1_b32 vcc_lo, exec_lo, s3
	s_cbranch_vccz .LBB28_16
.LBB28_6:                               ;   in Loop: Header=BB28_4 Depth=1
	s_and_b32 vcc_lo, exec_lo, s29
	s_mov_b32 s3, -1
                                        ; implicit-def: $vgpr20
	s_cbranch_vccnz .LBB28_17
.LBB28_7:                               ;   in Loop: Header=BB28_4 Depth=1
	s_and_not1_b32 vcc_lo, exec_lo, s3
	s_cbranch_vccnz .LBB28_9
.LBB28_8:                               ;   in Loop: Header=BB28_4 Depth=1
	s_wait_loadcnt_dscnt 0x0
	ds_load_b32 v20, v16
.LBB28_9:                               ;   in Loop: Header=BB28_4 Depth=1
	s_wait_loadcnt_dscnt 0x0
	v_cmp_neq_f32_e32 vcc_lo, 0, v19
	v_cmp_neq_f32_e64 s3, 1.0, v20
	s_or_b32 s3, vcc_lo, s3
	s_wait_xcnt 0x0
	s_and_saveexec_b32 s23, s3
	s_cbranch_execz .LBB28_3
; %bb.10:                               ;   in Loop: Header=BB28_4 Depth=1
	v_mov_b64_e32 v[10:11], s[4:5]
	v_cmp_eq_f32_e64 s3, 0, v19
	v_cmp_neq_f32_e32 vcc_lo, 0, v19
	s_and_saveexec_b32 s20, s3
	s_delay_alu instid0(SALU_CYCLE_1)
	s_xor_b32 s3, exec_lo, s20
; %bb.11:                               ;   in Loop: Header=BB28_4 Depth=1
	v_mov_b64_e32 v[10:11], s[4:5]
; %bb.12:                               ;   in Loop: Header=BB28_4 Depth=1
	s_or_saveexec_b32 s3, s3
	v_mov_b64_e32 v[12:13], 0
	v_mov_b64_e32 v[14:15], 0
	s_xor_b32 exec_lo, exec_lo, s3
	s_cbranch_execnz .LBB28_18
; %bb.13:                               ;   in Loop: Header=BB28_4 Depth=1
	s_or_b32 exec_lo, exec_lo, s3
	s_and_saveexec_b32 s3, vcc_lo
	s_cbranch_execnz .LBB28_19
.LBB28_14:                              ;   in Loop: Header=BB28_4 Depth=1
	s_or_b32 exec_lo, exec_lo, s3
	s_delay_alu instid0(SALU_CYCLE_1)
	s_and_b32 exec_lo, exec_lo, s1
	s_cbranch_execz .LBB28_3
	s_branch .LBB28_20
.LBB28_15:                              ;   in Loop: Header=BB28_4 Depth=1
	s_wait_loadcnt 0x0
	ds_load_b64 v[10:11], v1
	s_wait_dscnt 0x0
	flat_load_b32 v19, v[10:11]
	s_cbranch_execnz .LBB28_6
.LBB28_16:                              ;   in Loop: Header=BB28_4 Depth=1
	s_wait_loadcnt_dscnt 0x0
	ds_load_b32 v19, v1
	s_and_b32 vcc_lo, exec_lo, s29
	s_mov_b32 s3, -1
                                        ; implicit-def: $vgpr20
	s_cbranch_vccz .LBB28_7
.LBB28_17:                              ;   in Loop: Header=BB28_4 Depth=1
	s_wait_xcnt 0x0
	s_wait_loadcnt 0x0
	ds_load_b64 v[10:11], v16
	s_wait_dscnt 0x0
	flat_load_b32 v20, v[10:11]
	s_cbranch_execz .LBB28_8
	s_branch .LBB28_9
.LBB28_18:                              ;   in Loop: Header=BB28_4 Depth=1
	s_lshl_b64 s[20:21], s[4:5], 3
	s_delay_alu instid0(SALU_CYCLE_1)
	s_add_nc_u64 s[20:21], s[6:7], s[20:21]
	global_load_b64 v[14:15], v5, s[20:21]
	s_wait_loadcnt 0x0
	v_add_nc_u64_e32 v[14:15], s[8:9], v[14:15]
	s_wait_xcnt 0x0
	s_or_b32 exec_lo, exec_lo, s3
	s_and_saveexec_b32 s3, vcc_lo
	s_cbranch_execz .LBB28_14
.LBB28_19:                              ;   in Loop: Header=BB28_4 Depth=1
	v_lshl_add_u64 v[12:13], v[10:11], 3, s[24:25]
	global_load_b64 v[12:13], v[12:13], off
	s_wait_loadcnt 0x0
	s_wait_xcnt 0x0
	v_lshl_add_u64 v[12:13], s[26:27], 2, v[12:13]
	s_or_b32 exec_lo, exec_lo, s3
	s_delay_alu instid0(SALU_CYCLE_1)
	s_and_b32 exec_lo, exec_lo, s1
	s_cbranch_execz .LBB28_3
.LBB28_20:                              ;   in Loop: Header=BB28_4 Depth=1
	v_lshl_add_u64 v[10:11], v[10:11], 3, s[14:15]
	v_mov_b32_e32 v21, 0
	global_load_b64 v[10:11], v[10:11], off
	s_wait_xcnt 0x0
	s_and_saveexec_b32 s3, vcc_lo
	s_cbranch_execz .LBB28_28
; %bb.21:                               ;   in Loop: Header=BB28_4 Depth=1
	v_mov_b32_e32 v21, 0
	s_and_saveexec_b32 s30, s2
	s_cbranch_execz .LBB28_27
; %bb.22:                               ;   in Loop: Header=BB28_4 Depth=1
	v_add_nc_u64_e32 v[12:13], v[12:13], v[6:7]
	v_add_nc_u64_e32 v[14:15], v[14:15], v[8:9]
	v_dual_mov_b32 v21, 0 :: v_dual_mov_b32 v22, v0
	s_mov_b64 s[20:21], 0
	s_mov_b32 s31, 0
	s_branch .LBB28_24
.LBB28_23:                              ;   in Loop: Header=BB28_24 Depth=2
	s_wait_xcnt 0x0
	s_or_b32 exec_lo, exec_lo, s33
	s_add_nc_u64 s[20:21], s[20:21], s[12:13]
	v_add_nc_u64_e32 v[12:13], s[10:11], v[12:13]
	v_add3_u32 v23, v4, s20, 32
	v_add_nc_u64_e32 v[14:15], s[18:19], v[14:15]
	v_add_nc_u32_e32 v22, 32, v22
	s_delay_alu instid0(VALU_DEP_3) | instskip(SKIP_1) | instid1(SALU_CYCLE_1)
	v_cmp_gt_u32_e32 vcc_lo, 32, v23
	s_or_b32 s31, vcc_lo, s31
	s_and_not1_b32 exec_lo, exec_lo, s31
	s_cbranch_execz .LBB28_26
.LBB28_24:                              ;   Parent Loop BB28_4 Depth=1
                                        ; =>  This Inner Loop Header: Depth=2
	s_mov_b32 s33, exec_lo
	v_cmpx_gt_i32_e64 s22, v22
	s_cbranch_execz .LBB28_23
; %bb.25:                               ;   in Loop: Header=BB28_24 Depth=2
	flat_load_b32 v23, v[14:15]
	flat_load_b32 v24, v[12:13]
	s_wait_loadcnt_dscnt 0x0
	v_fmac_f32_e32 v21, v23, v24
	s_branch .LBB28_23
.LBB28_26:                              ;   in Loop: Header=BB28_4 Depth=1
	s_or_b32 exec_lo, exec_lo, s31
.LBB28_27:                              ;   in Loop: Header=BB28_4 Depth=1
	s_delay_alu instid0(SALU_CYCLE_1)
	s_or_b32 exec_lo, exec_lo, s30
	ds_bpermute_b32 v12, v18, v21
	v_cmp_gt_u32_e32 vcc_lo, 24, v17
	s_wait_loadcnt_dscnt 0x0
	s_barrier_signal -1
	s_barrier_wait -1
	v_cndmask_b32_e64 v13, 0, 8, vcc_lo
	v_cmp_gt_u32_e32 vcc_lo, 28, v17
	s_delay_alu instid0(VALU_DEP_2) | instskip(SKIP_2) | instid1(VALU_DEP_2)
	v_add_lshl_u32 v13, v13, v17, 2
	v_cndmask_b32_e64 v14, 0, 4, vcc_lo
	v_cmp_gt_u32_e32 vcc_lo, 30, v17
	v_add_lshl_u32 v14, v14, v17, 2
	v_add_f32_e32 v12, v21, v12
	ds_bpermute_b32 v13, v13, v12
	s_wait_dscnt 0x0
	v_add_f32_e32 v12, v12, v13
	ds_bpermute_b32 v13, v14, v12
	v_cndmask_b32_e64 v14, 0, 2, vcc_lo
	v_cmp_ne_u32_e32 vcc_lo, 31, v17
	s_delay_alu instid0(VALU_DEP_2)
	v_add_lshl_u32 v14, v14, v17, 2
	s_wait_dscnt 0x0
	v_add_f32_e32 v12, v12, v13
	ds_bpermute_b32 v13, v14, v12
	v_add_co_ci_u32_e64 v14, null, 0, v17, vcc_lo
	s_wait_dscnt 0x0
	s_delay_alu instid0(VALU_DEP_1) | instskip(SKIP_3) | instid1(VALU_DEP_1)
	v_dual_add_f32 v12, v12, v13 :: v_dual_lshlrev_b32 v13, 2, v14
	ds_bpermute_b32 v13, v13, v12
	s_wait_dscnt 0x0
	v_add_f32_e32 v12, v12, v13
	v_mul_f32_e32 v21, v19, v12
.LBB28_28:                              ;   in Loop: Header=BB28_4 Depth=1
	s_or_b32 exec_lo, exec_lo, s3
	s_delay_alu instid0(SALU_CYCLE_1)
	s_and_b32 exec_lo, exec_lo, s0
	s_cbranch_execz .LBB28_3
; %bb.29:                               ;   in Loop: Header=BB28_4 Depth=1
	s_wait_loadcnt 0x0
	v_lshl_add_u64 v[10:11], s[16:17], 2, v[10:11]
	s_mov_b32 s3, exec_lo
	s_delay_alu instid0(VALU_DEP_1)
	v_lshl_add_u64 v[10:11], v[2:3], 2, v[10:11]
	v_cmpx_neq_f32_e32 0, v20
	s_cbranch_execz .LBB28_2
; %bb.30:                               ;   in Loop: Header=BB28_4 Depth=1
	flat_load_b32 v12, v[10:11]
	s_wait_loadcnt_dscnt 0x0
	v_fmac_f32_e32 v21, v20, v12
	s_branch .LBB28_2
.LBB28_31:
	s_endpgm
	.section	.rodata,"a",@progbits
	.p2align	6, 0x0
	.amdhsa_kernel _ZL20rocblas_gbmvn_kernelILi32ELi32E24rocblas_internal_val_ptrIfEPKPKfPKPfEvbiiiiT1_T2_lllSA_lllS9_T3_llli
		.amdhsa_group_segment_fixed_size 16384
		.amdhsa_private_segment_fixed_size 0
		.amdhsa_kernarg_size 140
		.amdhsa_user_sgpr_count 4
		.amdhsa_user_sgpr_dispatch_ptr 1
		.amdhsa_user_sgpr_queue_ptr 0
		.amdhsa_user_sgpr_kernarg_segment_ptr 1
		.amdhsa_user_sgpr_dispatch_id 0
		.amdhsa_user_sgpr_kernarg_preload_length 0
		.amdhsa_user_sgpr_kernarg_preload_offset 0
		.amdhsa_user_sgpr_private_segment_size 0
		.amdhsa_wavefront_size32 1
		.amdhsa_uses_dynamic_stack 0
		.amdhsa_enable_private_segment 0
		.amdhsa_system_sgpr_workgroup_id_x 1
		.amdhsa_system_sgpr_workgroup_id_y 0
		.amdhsa_system_sgpr_workgroup_id_z 1
		.amdhsa_system_sgpr_workgroup_info 0
		.amdhsa_system_vgpr_workitem_id 2
		.amdhsa_next_free_vgpr 25
		.amdhsa_next_free_sgpr 34
		.amdhsa_named_barrier_count 0
		.amdhsa_reserve_vcc 1
		.amdhsa_float_round_mode_32 0
		.amdhsa_float_round_mode_16_64 0
		.amdhsa_float_denorm_mode_32 3
		.amdhsa_float_denorm_mode_16_64 3
		.amdhsa_fp16_overflow 0
		.amdhsa_memory_ordered 1
		.amdhsa_forward_progress 1
		.amdhsa_inst_pref_size 11
		.amdhsa_round_robin_scheduling 0
		.amdhsa_exception_fp_ieee_invalid_op 0
		.amdhsa_exception_fp_denorm_src 0
		.amdhsa_exception_fp_ieee_div_zero 0
		.amdhsa_exception_fp_ieee_overflow 0
		.amdhsa_exception_fp_ieee_underflow 0
		.amdhsa_exception_fp_ieee_inexact 0
		.amdhsa_exception_int_div_zero 0
	.end_amdhsa_kernel
	.section	.text._ZL20rocblas_gbmvn_kernelILi32ELi32E24rocblas_internal_val_ptrIfEPKPKfPKPfEvbiiiiT1_T2_lllSA_lllS9_T3_llli,"axG",@progbits,_ZL20rocblas_gbmvn_kernelILi32ELi32E24rocblas_internal_val_ptrIfEPKPKfPKPfEvbiiiiT1_T2_lllSA_lllS9_T3_llli,comdat
.Lfunc_end28:
	.size	_ZL20rocblas_gbmvn_kernelILi32ELi32E24rocblas_internal_val_ptrIfEPKPKfPKPfEvbiiiiT1_T2_lllSA_lllS9_T3_llli, .Lfunc_end28-_ZL20rocblas_gbmvn_kernelILi32ELi32E24rocblas_internal_val_ptrIfEPKPKfPKPfEvbiiiiT1_T2_lllSA_lllS9_T3_llli
                                        ; -- End function
	.set _ZL20rocblas_gbmvn_kernelILi32ELi32E24rocblas_internal_val_ptrIfEPKPKfPKPfEvbiiiiT1_T2_lllSA_lllS9_T3_llli.num_vgpr, 25
	.set _ZL20rocblas_gbmvn_kernelILi32ELi32E24rocblas_internal_val_ptrIfEPKPKfPKPfEvbiiiiT1_T2_lllSA_lllS9_T3_llli.num_agpr, 0
	.set _ZL20rocblas_gbmvn_kernelILi32ELi32E24rocblas_internal_val_ptrIfEPKPKfPKPfEvbiiiiT1_T2_lllSA_lllS9_T3_llli.numbered_sgpr, 34
	.set _ZL20rocblas_gbmvn_kernelILi32ELi32E24rocblas_internal_val_ptrIfEPKPKfPKPfEvbiiiiT1_T2_lllSA_lllS9_T3_llli.num_named_barrier, 0
	.set _ZL20rocblas_gbmvn_kernelILi32ELi32E24rocblas_internal_val_ptrIfEPKPKfPKPfEvbiiiiT1_T2_lllSA_lllS9_T3_llli.private_seg_size, 0
	.set _ZL20rocblas_gbmvn_kernelILi32ELi32E24rocblas_internal_val_ptrIfEPKPKfPKPfEvbiiiiT1_T2_lllSA_lllS9_T3_llli.uses_vcc, 1
	.set _ZL20rocblas_gbmvn_kernelILi32ELi32E24rocblas_internal_val_ptrIfEPKPKfPKPfEvbiiiiT1_T2_lllSA_lllS9_T3_llli.uses_flat_scratch, 0
	.set _ZL20rocblas_gbmvn_kernelILi32ELi32E24rocblas_internal_val_ptrIfEPKPKfPKPfEvbiiiiT1_T2_lllSA_lllS9_T3_llli.has_dyn_sized_stack, 0
	.set _ZL20rocblas_gbmvn_kernelILi32ELi32E24rocblas_internal_val_ptrIfEPKPKfPKPfEvbiiiiT1_T2_lllSA_lllS9_T3_llli.has_recursion, 0
	.set _ZL20rocblas_gbmvn_kernelILi32ELi32E24rocblas_internal_val_ptrIfEPKPKfPKPfEvbiiiiT1_T2_lllSA_lllS9_T3_llli.has_indirect_call, 0
	.section	.AMDGPU.csdata,"",@progbits
; Kernel info:
; codeLenInByte = 1308
; TotalNumSgprs: 36
; NumVgprs: 25
; ScratchSize: 0
; MemoryBound: 0
; FloatMode: 240
; IeeeMode: 1
; LDSByteSize: 16384 bytes/workgroup (compile time only)
; SGPRBlocks: 0
; VGPRBlocks: 1
; NumSGPRsForWavesPerEU: 36
; NumVGPRsForWavesPerEU: 25
; NamedBarCnt: 0
; Occupancy: 16
; WaveLimiterHint : 1
; COMPUTE_PGM_RSRC2:SCRATCH_EN: 0
; COMPUTE_PGM_RSRC2:USER_SGPR: 4
; COMPUTE_PGM_RSRC2:TRAP_HANDLER: 0
; COMPUTE_PGM_RSRC2:TGID_X_EN: 1
; COMPUTE_PGM_RSRC2:TGID_Y_EN: 0
; COMPUTE_PGM_RSRC2:TGID_Z_EN: 1
; COMPUTE_PGM_RSRC2:TIDIG_COMP_CNT: 2
	.section	.text._ZL20rocblas_gbmvn_kernelILi64ELi16E24rocblas_internal_val_ptrIfEPKPKfPKPfEvbiiiiT1_T2_lllSA_lllS9_T3_llli,"axG",@progbits,_ZL20rocblas_gbmvn_kernelILi64ELi16E24rocblas_internal_val_ptrIfEPKPKfPKPfEvbiiiiT1_T2_lllSA_lllS9_T3_llli,comdat
	.globl	_ZL20rocblas_gbmvn_kernelILi64ELi16E24rocblas_internal_val_ptrIfEPKPKfPKPfEvbiiiiT1_T2_lllSA_lllS9_T3_llli ; -- Begin function _ZL20rocblas_gbmvn_kernelILi64ELi16E24rocblas_internal_val_ptrIfEPKPKfPKPfEvbiiiiT1_T2_lllSA_lllS9_T3_llli
	.p2align	8
	.type	_ZL20rocblas_gbmvn_kernelILi64ELi16E24rocblas_internal_val_ptrIfEPKPKfPKPfEvbiiiiT1_T2_lllSA_lllS9_T3_llli,@function
_ZL20rocblas_gbmvn_kernelILi64ELi16E24rocblas_internal_val_ptrIfEPKPKfPKPfEvbiiiiT1_T2_lllSA_lllS9_T3_llli: ; @_ZL20rocblas_gbmvn_kernelILi64ELi16E24rocblas_internal_val_ptrIfEPKPKfPKPfEvbiiiiT1_T2_lllSA_lllS9_T3_llli
; %bb.0:
	s_load_b256 s[4:11], s[2:3], 0x18
	s_load_b64 s[20:21], s[0:1], 0x4
	s_load_b256 s[12:19], s[2:3], 0x60
	v_bfe_u32 v1, v0, 10, 10
	s_load_b32 s28, s[2:3], 0x88
	v_and_b32_e32 v6, 0x3ff, v0
	s_wait_xcnt 0x0
	s_lshr_b32 s1, ttmp7, 16
	v_bfe_u32 v0, v0, 20, 10
	s_wait_kmcnt 0x0
	v_dual_mov_b32 v2, s4 :: v_dual_mov_b32 v3, s5
	v_mul_u32_u24_e32 v5, s21, v1
	s_lshr_b32 s0, s20, 16
	s_bfe_u32 s5, ttmp6, 0x40008
	s_mul_i32 s0, s0, s21
	v_mov_b32_e32 v4, s12
	v_mad_u32 v7, s0, v6, v5
	s_bfe_u32 s0, ttmp6, 0x40014
	v_mov_b32_e32 v5, s13
	s_add_co_i32 s0, s0, 1
	s_delay_alu instid0(SALU_CYCLE_1) | instskip(SKIP_4) | instid1(VALU_DEP_2)
	s_mul_i32 s4, s1, s0
	s_getreg_b32 s0, hwreg(HW_REG_IB_STS2, 6, 4)
	s_add_co_i32 s5, s5, s4
	s_cmp_eq_u32 s0, 0
	s_cselect_b32 s4, s1, s5
	v_add_lshl_u32 v16, v7, v0, 3
	s_cmp_ge_u32 s4, s28
	s_mov_b32 s5, 0
	ds_store_2addr_stride64_b64 v16, v[4:5], v[2:3] offset1:16
	s_cbranch_scc1 .LBB29_31
; %bb.1:
	s_clause 0x3
	s_load_b128 s[20:23], s[2:3], 0x0
	s_load_b32 s1, s[2:3], 0x10
	s_load_b64 s[30:31], s[2:3], 0x50
	s_load_b128 s[24:27], s[2:3], 0x40
	v_mbcnt_lo_u32_b32 v17, -1, 0
	s_delay_alu instid0(VALU_DEP_1) | instskip(NEXT) | instid1(VALU_DEP_1)
	v_dual_mov_b32 v5, 0 :: v_dual_lshlrev_b32 v18, 2, v17
	v_or_b32_e32 v19, 64, v18
	s_wait_kmcnt 0x0
	s_bitcmp1_b32 s20, 0
	s_cselect_b32 s12, -1, 0
	s_bfe_u32 s13, ttmp6, 0x4000c
	s_and_b32 s20, ttmp6, 15
	s_add_co_i32 s13, s13, 1
	s_xor_b32 s29, s12, -1
	s_mul_i32 s13, ttmp9, s13
	s_delay_alu instid0(SALU_CYCLE_1)
	s_add_co_i32 s20, s20, s13
	s_cmp_eq_u32 s0, 0
	s_mov_b64 s[12:13], 0xffffffffffffffc0
	s_cselect_b32 s0, ttmp9, s20
	s_lshl_b64 s[8:9], s[8:9], 2
	v_lshl_add_u32 v8, s0, 4, v1
	v_cmp_eq_u32_e64 s0, 0, v6
	s_delay_alu instid0(VALU_DEP_2) | instskip(SKIP_1) | instid1(VALU_DEP_2)
	v_subrev_nc_u32_e32 v0, s23, v8
	v_dual_ashrrev_i32 v9, 31, v8 :: v_dual_min_i32 v4, s23, v8
	v_max_i32_e32 v0, 0, v0
	s_delay_alu instid0(VALU_DEP_2) | instskip(SKIP_1) | instid1(VALU_DEP_2)
	v_mul_u64_e32 v[2:3], s[18:19], v[8:9]
	s_lshl_b64 s[18:19], s[10:11], 8
	v_add_nc_u32_e32 v0, v0, v6
	s_delay_alu instid0(VALU_DEP_1) | instskip(NEXT) | instid1(VALU_DEP_1)
	v_ashrrev_i32_e32 v1, 31, v0
	v_mul_u64_e32 v[10:11], s[30:31], v[0:1]
	v_mul_u64_e32 v[12:13], s[10:11], v[0:1]
	v_sub_nc_u32_e32 v1, s1, v6
	v_cmp_gt_i32_e64 s1, s21, v8
	s_mov_b64 s[20:21], 0xffffffffffffff00
	s_lshl_b64 s[10:11], s[30:31], 8
	s_add_nc_u64 s[18:19], s[18:19], s[20:21]
	v_add_nc_u32_e32 v4, v1, v4
	v_add_nc_u32_e32 v1, 0x2000, v16
	s_delay_alu instid0(VALU_DEP_2) | instskip(SKIP_2) | instid1(VALU_DEP_3)
	v_lshlrev_b64_e32 v[14:15], 2, v[4:5]
	v_cmp_lt_i32_e64 s2, -1, v4
	v_lshlrev_b64_e32 v[6:7], 2, v[10:11]
	v_lshl_add_u64 v[8:9], v[12:13], 2, v[14:15]
	s_branch .LBB29_4
.LBB29_2:                               ;   in Loop: Header=BB29_4 Depth=1
	s_wait_xcnt 0x0
	s_or_b32 exec_lo, exec_lo, s3
	flat_store_b32 v[10:11], v22
.LBB29_3:                               ;   in Loop: Header=BB29_4 Depth=1
	s_wait_xcnt 0x0
	s_or_b32 exec_lo, exec_lo, s23
	s_add_co_i32 s4, s4, 0x10000
	s_delay_alu instid0(SALU_CYCLE_1)
	s_cmp_lt_u32 s4, s28
	s_cbranch_scc0 .LBB29_31
.LBB29_4:                               ; =>This Loop Header: Depth=1
                                        ;     Child Loop BB29_24 Depth 2
	s_and_b32 vcc_lo, exec_lo, s29
	s_mov_b32 s3, -1
                                        ; implicit-def: $vgpr20
	s_cbranch_vccnz .LBB29_15
; %bb.5:                                ;   in Loop: Header=BB29_4 Depth=1
	s_and_not1_b32 vcc_lo, exec_lo, s3
	s_cbranch_vccz .LBB29_16
.LBB29_6:                               ;   in Loop: Header=BB29_4 Depth=1
	s_and_b32 vcc_lo, exec_lo, s29
	s_mov_b32 s3, -1
                                        ; implicit-def: $vgpr21
	s_cbranch_vccnz .LBB29_17
.LBB29_7:                               ;   in Loop: Header=BB29_4 Depth=1
	s_and_not1_b32 vcc_lo, exec_lo, s3
	s_cbranch_vccnz .LBB29_9
.LBB29_8:                               ;   in Loop: Header=BB29_4 Depth=1
	s_wait_loadcnt_dscnt 0x0
	ds_load_b32 v21, v16
.LBB29_9:                               ;   in Loop: Header=BB29_4 Depth=1
	s_wait_loadcnt_dscnt 0x0
	v_cmp_neq_f32_e32 vcc_lo, 0, v20
	v_cmp_neq_f32_e64 s3, 1.0, v21
	s_or_b32 s3, vcc_lo, s3
	s_wait_xcnt 0x0
	s_and_saveexec_b32 s23, s3
	s_cbranch_execz .LBB29_3
; %bb.10:                               ;   in Loop: Header=BB29_4 Depth=1
	v_mov_b64_e32 v[10:11], s[4:5]
	v_cmp_eq_f32_e64 s3, 0, v20
	v_cmp_neq_f32_e32 vcc_lo, 0, v20
	s_and_saveexec_b32 s20, s3
	s_delay_alu instid0(SALU_CYCLE_1)
	s_xor_b32 s3, exec_lo, s20
; %bb.11:                               ;   in Loop: Header=BB29_4 Depth=1
	v_mov_b64_e32 v[10:11], s[4:5]
; %bb.12:                               ;   in Loop: Header=BB29_4 Depth=1
	s_or_saveexec_b32 s3, s3
	v_mov_b64_e32 v[12:13], 0
	v_mov_b64_e32 v[14:15], 0
	s_xor_b32 exec_lo, exec_lo, s3
	s_cbranch_execnz .LBB29_18
; %bb.13:                               ;   in Loop: Header=BB29_4 Depth=1
	s_or_b32 exec_lo, exec_lo, s3
	s_and_saveexec_b32 s3, vcc_lo
	s_cbranch_execnz .LBB29_19
.LBB29_14:                              ;   in Loop: Header=BB29_4 Depth=1
	s_or_b32 exec_lo, exec_lo, s3
	s_delay_alu instid0(SALU_CYCLE_1)
	s_and_b32 exec_lo, exec_lo, s1
	s_cbranch_execz .LBB29_3
	s_branch .LBB29_20
.LBB29_15:                              ;   in Loop: Header=BB29_4 Depth=1
	s_wait_loadcnt 0x0
	ds_load_b64 v[10:11], v1
	s_wait_dscnt 0x0
	flat_load_b32 v20, v[10:11]
	s_cbranch_execnz .LBB29_6
.LBB29_16:                              ;   in Loop: Header=BB29_4 Depth=1
	s_wait_loadcnt_dscnt 0x0
	ds_load_b32 v20, v1
	s_and_b32 vcc_lo, exec_lo, s29
	s_mov_b32 s3, -1
                                        ; implicit-def: $vgpr21
	s_cbranch_vccz .LBB29_7
.LBB29_17:                              ;   in Loop: Header=BB29_4 Depth=1
	s_wait_xcnt 0x0
	s_wait_loadcnt 0x0
	ds_load_b64 v[10:11], v16
	s_wait_dscnt 0x0
	flat_load_b32 v21, v[10:11]
	s_cbranch_execz .LBB29_8
	s_branch .LBB29_9
.LBB29_18:                              ;   in Loop: Header=BB29_4 Depth=1
	s_lshl_b64 s[20:21], s[4:5], 3
	s_delay_alu instid0(SALU_CYCLE_1)
	s_add_nc_u64 s[20:21], s[6:7], s[20:21]
	global_load_b64 v[14:15], v5, s[20:21]
	s_wait_loadcnt 0x0
	v_add_nc_u64_e32 v[14:15], s[8:9], v[14:15]
	s_wait_xcnt 0x0
	s_or_b32 exec_lo, exec_lo, s3
	s_and_saveexec_b32 s3, vcc_lo
	s_cbranch_execz .LBB29_14
.LBB29_19:                              ;   in Loop: Header=BB29_4 Depth=1
	v_lshl_add_u64 v[12:13], v[10:11], 3, s[24:25]
	global_load_b64 v[12:13], v[12:13], off
	s_wait_loadcnt 0x0
	s_wait_xcnt 0x0
	v_lshl_add_u64 v[12:13], s[26:27], 2, v[12:13]
	s_or_b32 exec_lo, exec_lo, s3
	s_delay_alu instid0(SALU_CYCLE_1)
	s_and_b32 exec_lo, exec_lo, s1
	s_cbranch_execz .LBB29_3
.LBB29_20:                              ;   in Loop: Header=BB29_4 Depth=1
	v_lshl_add_u64 v[10:11], v[10:11], 3, s[14:15]
	v_mov_b32_e32 v22, 0
	global_load_b64 v[10:11], v[10:11], off
	s_wait_xcnt 0x0
	s_and_saveexec_b32 s3, vcc_lo
	s_cbranch_execz .LBB29_28
; %bb.21:                               ;   in Loop: Header=BB29_4 Depth=1
	v_mov_b32_e32 v22, 0
	s_and_saveexec_b32 s30, s2
	s_cbranch_execz .LBB29_27
; %bb.22:                               ;   in Loop: Header=BB29_4 Depth=1
	v_add_nc_u64_e32 v[12:13], v[12:13], v[6:7]
	v_add_nc_u64_e32 v[14:15], v[14:15], v[8:9]
	v_dual_mov_b32 v22, 0 :: v_dual_mov_b32 v23, v0
	s_mov_b64 s[20:21], 0
	s_mov_b32 s31, 0
	s_branch .LBB29_24
.LBB29_23:                              ;   in Loop: Header=BB29_24 Depth=2
	s_wait_xcnt 0x0
	s_or_b32 exec_lo, exec_lo, s33
	s_add_nc_u64 s[20:21], s[20:21], s[12:13]
	v_add_nc_u64_e32 v[12:13], s[10:11], v[12:13]
	v_add3_u32 v24, v4, s20, 64
	v_add_nc_u64_e32 v[14:15], s[18:19], v[14:15]
	v_add_nc_u32_e32 v23, 64, v23
	s_delay_alu instid0(VALU_DEP_3) | instskip(SKIP_1) | instid1(SALU_CYCLE_1)
	v_cmp_gt_u32_e32 vcc_lo, 64, v24
	s_or_b32 s31, vcc_lo, s31
	s_and_not1_b32 exec_lo, exec_lo, s31
	s_cbranch_execz .LBB29_26
.LBB29_24:                              ;   Parent Loop BB29_4 Depth=1
                                        ; =>  This Inner Loop Header: Depth=2
	s_mov_b32 s33, exec_lo
	v_cmpx_gt_i32_e64 s22, v23
	s_cbranch_execz .LBB29_23
; %bb.25:                               ;   in Loop: Header=BB29_24 Depth=2
	flat_load_b32 v24, v[14:15]
	flat_load_b32 v25, v[12:13]
	s_wait_loadcnt_dscnt 0x0
	v_fmac_f32_e32 v22, v24, v25
	s_branch .LBB29_23
.LBB29_26:                              ;   in Loop: Header=BB29_4 Depth=1
	s_or_b32 exec_lo, exec_lo, s31
.LBB29_27:                              ;   in Loop: Header=BB29_4 Depth=1
	s_delay_alu instid0(SALU_CYCLE_1)
	s_or_b32 exec_lo, exec_lo, s30
	ds_bpermute_b32 v12, v18, v22
	v_cmp_gt_u32_e32 vcc_lo, 24, v17
	s_wait_loadcnt_dscnt 0x0
	s_barrier_signal -1
	s_barrier_wait -1
	v_cndmask_b32_e64 v14, 0, 8, vcc_lo
	v_cmp_gt_u32_e32 vcc_lo, 28, v17
	s_delay_alu instid0(VALU_DEP_2)
	v_add_lshl_u32 v14, v14, v17, 2
	v_add_f32_e32 v12, v22, v12
	ds_bpermute_b32 v13, v19, v12
	s_wait_dscnt 0x0
	v_add_f32_e32 v12, v12, v13
	ds_bpermute_b32 v13, v14, v12
	v_cndmask_b32_e64 v14, 0, 4, vcc_lo
	v_cmp_gt_u32_e32 vcc_lo, 30, v17
	s_delay_alu instid0(VALU_DEP_2)
	v_add_lshl_u32 v14, v14, v17, 2
	s_wait_dscnt 0x0
	v_add_f32_e32 v12, v12, v13
	ds_bpermute_b32 v13, v14, v12
	v_cndmask_b32_e64 v14, 0, 2, vcc_lo
	v_cmp_ne_u32_e32 vcc_lo, 31, v17
	s_delay_alu instid0(VALU_DEP_2)
	v_add_lshl_u32 v14, v14, v17, 2
	s_wait_dscnt 0x0
	v_add_f32_e32 v12, v12, v13
	ds_bpermute_b32 v13, v14, v12
	v_add_co_ci_u32_e64 v14, null, 0, v17, vcc_lo
	s_wait_dscnt 0x0
	s_delay_alu instid0(VALU_DEP_1) | instskip(SKIP_3) | instid1(VALU_DEP_1)
	v_dual_add_f32 v12, v12, v13 :: v_dual_lshlrev_b32 v13, 2, v14
	ds_bpermute_b32 v13, v13, v12
	s_wait_dscnt 0x0
	v_add_f32_e32 v12, v12, v13
	v_mul_f32_e32 v22, v20, v12
.LBB29_28:                              ;   in Loop: Header=BB29_4 Depth=1
	s_or_b32 exec_lo, exec_lo, s3
	s_delay_alu instid0(SALU_CYCLE_1)
	s_and_b32 exec_lo, exec_lo, s0
	s_cbranch_execz .LBB29_3
; %bb.29:                               ;   in Loop: Header=BB29_4 Depth=1
	s_wait_loadcnt 0x0
	v_lshl_add_u64 v[10:11], s[16:17], 2, v[10:11]
	s_mov_b32 s3, exec_lo
	s_delay_alu instid0(VALU_DEP_1)
	v_lshl_add_u64 v[10:11], v[2:3], 2, v[10:11]
	v_cmpx_neq_f32_e32 0, v21
	s_cbranch_execz .LBB29_2
; %bb.30:                               ;   in Loop: Header=BB29_4 Depth=1
	flat_load_b32 v12, v[10:11]
	s_wait_loadcnt_dscnt 0x0
	v_fmac_f32_e32 v22, v21, v12
	s_branch .LBB29_2
.LBB29_31:
	s_endpgm
	.section	.rodata,"a",@progbits
	.p2align	6, 0x0
	.amdhsa_kernel _ZL20rocblas_gbmvn_kernelILi64ELi16E24rocblas_internal_val_ptrIfEPKPKfPKPfEvbiiiiT1_T2_lllSA_lllS9_T3_llli
		.amdhsa_group_segment_fixed_size 16384
		.amdhsa_private_segment_fixed_size 0
		.amdhsa_kernarg_size 140
		.amdhsa_user_sgpr_count 4
		.amdhsa_user_sgpr_dispatch_ptr 1
		.amdhsa_user_sgpr_queue_ptr 0
		.amdhsa_user_sgpr_kernarg_segment_ptr 1
		.amdhsa_user_sgpr_dispatch_id 0
		.amdhsa_user_sgpr_kernarg_preload_length 0
		.amdhsa_user_sgpr_kernarg_preload_offset 0
		.amdhsa_user_sgpr_private_segment_size 0
		.amdhsa_wavefront_size32 1
		.amdhsa_uses_dynamic_stack 0
		.amdhsa_enable_private_segment 0
		.amdhsa_system_sgpr_workgroup_id_x 1
		.amdhsa_system_sgpr_workgroup_id_y 0
		.amdhsa_system_sgpr_workgroup_id_z 1
		.amdhsa_system_sgpr_workgroup_info 0
		.amdhsa_system_vgpr_workitem_id 2
		.amdhsa_next_free_vgpr 26
		.amdhsa_next_free_sgpr 34
		.amdhsa_named_barrier_count 0
		.amdhsa_reserve_vcc 1
		.amdhsa_float_round_mode_32 0
		.amdhsa_float_round_mode_16_64 0
		.amdhsa_float_denorm_mode_32 3
		.amdhsa_float_denorm_mode_16_64 3
		.amdhsa_fp16_overflow 0
		.amdhsa_memory_ordered 1
		.amdhsa_forward_progress 1
		.amdhsa_inst_pref_size 11
		.amdhsa_round_robin_scheduling 0
		.amdhsa_exception_fp_ieee_invalid_op 0
		.amdhsa_exception_fp_denorm_src 0
		.amdhsa_exception_fp_ieee_div_zero 0
		.amdhsa_exception_fp_ieee_overflow 0
		.amdhsa_exception_fp_ieee_underflow 0
		.amdhsa_exception_fp_ieee_inexact 0
		.amdhsa_exception_int_div_zero 0
	.end_amdhsa_kernel
	.section	.text._ZL20rocblas_gbmvn_kernelILi64ELi16E24rocblas_internal_val_ptrIfEPKPKfPKPfEvbiiiiT1_T2_lllSA_lllS9_T3_llli,"axG",@progbits,_ZL20rocblas_gbmvn_kernelILi64ELi16E24rocblas_internal_val_ptrIfEPKPKfPKPfEvbiiiiT1_T2_lllSA_lllS9_T3_llli,comdat
.Lfunc_end29:
	.size	_ZL20rocblas_gbmvn_kernelILi64ELi16E24rocblas_internal_val_ptrIfEPKPKfPKPfEvbiiiiT1_T2_lllSA_lllS9_T3_llli, .Lfunc_end29-_ZL20rocblas_gbmvn_kernelILi64ELi16E24rocblas_internal_val_ptrIfEPKPKfPKPfEvbiiiiT1_T2_lllSA_lllS9_T3_llli
                                        ; -- End function
	.set _ZL20rocblas_gbmvn_kernelILi64ELi16E24rocblas_internal_val_ptrIfEPKPKfPKPfEvbiiiiT1_T2_lllSA_lllS9_T3_llli.num_vgpr, 26
	.set _ZL20rocblas_gbmvn_kernelILi64ELi16E24rocblas_internal_val_ptrIfEPKPKfPKPfEvbiiiiT1_T2_lllSA_lllS9_T3_llli.num_agpr, 0
	.set _ZL20rocblas_gbmvn_kernelILi64ELi16E24rocblas_internal_val_ptrIfEPKPKfPKPfEvbiiiiT1_T2_lllSA_lllS9_T3_llli.numbered_sgpr, 34
	.set _ZL20rocblas_gbmvn_kernelILi64ELi16E24rocblas_internal_val_ptrIfEPKPKfPKPfEvbiiiiT1_T2_lllSA_lllS9_T3_llli.num_named_barrier, 0
	.set _ZL20rocblas_gbmvn_kernelILi64ELi16E24rocblas_internal_val_ptrIfEPKPKfPKPfEvbiiiiT1_T2_lllSA_lllS9_T3_llli.private_seg_size, 0
	.set _ZL20rocblas_gbmvn_kernelILi64ELi16E24rocblas_internal_val_ptrIfEPKPKfPKPfEvbiiiiT1_T2_lllSA_lllS9_T3_llli.uses_vcc, 1
	.set _ZL20rocblas_gbmvn_kernelILi64ELi16E24rocblas_internal_val_ptrIfEPKPKfPKPfEvbiiiiT1_T2_lllSA_lllS9_T3_llli.uses_flat_scratch, 0
	.set _ZL20rocblas_gbmvn_kernelILi64ELi16E24rocblas_internal_val_ptrIfEPKPKfPKPfEvbiiiiT1_T2_lllSA_lllS9_T3_llli.has_dyn_sized_stack, 0
	.set _ZL20rocblas_gbmvn_kernelILi64ELi16E24rocblas_internal_val_ptrIfEPKPKfPKPfEvbiiiiT1_T2_lllSA_lllS9_T3_llli.has_recursion, 0
	.set _ZL20rocblas_gbmvn_kernelILi64ELi16E24rocblas_internal_val_ptrIfEPKPKfPKPfEvbiiiiT1_T2_lllSA_lllS9_T3_llli.has_indirect_call, 0
	.section	.AMDGPU.csdata,"",@progbits
; Kernel info:
; codeLenInByte = 1328
; TotalNumSgprs: 36
; NumVgprs: 26
; ScratchSize: 0
; MemoryBound: 0
; FloatMode: 240
; IeeeMode: 1
; LDSByteSize: 16384 bytes/workgroup (compile time only)
; SGPRBlocks: 0
; VGPRBlocks: 1
; NumSGPRsForWavesPerEU: 36
; NumVGPRsForWavesPerEU: 26
; NamedBarCnt: 0
; Occupancy: 16
; WaveLimiterHint : 1
; COMPUTE_PGM_RSRC2:SCRATCH_EN: 0
; COMPUTE_PGM_RSRC2:USER_SGPR: 4
; COMPUTE_PGM_RSRC2:TRAP_HANDLER: 0
; COMPUTE_PGM_RSRC2:TGID_X_EN: 1
; COMPUTE_PGM_RSRC2:TGID_Y_EN: 0
; COMPUTE_PGM_RSRC2:TGID_Z_EN: 1
; COMPUTE_PGM_RSRC2:TIDIG_COMP_CNT: 2
	.section	.text._ZL20rocblas_gbmvt_kernelILi32ELi32E24rocblas_internal_val_ptrIfEPKPKfPKPfEvb18rocblas_operation_iiiiT1_T2_lllSB_lllSA_T3_llli,"axG",@progbits,_ZL20rocblas_gbmvt_kernelILi32ELi32E24rocblas_internal_val_ptrIfEPKPKfPKPfEvb18rocblas_operation_iiiiT1_T2_lllSB_lllSA_T3_llli,comdat
	.globl	_ZL20rocblas_gbmvt_kernelILi32ELi32E24rocblas_internal_val_ptrIfEPKPKfPKPfEvb18rocblas_operation_iiiiT1_T2_lllSB_lllSA_T3_llli ; -- Begin function _ZL20rocblas_gbmvt_kernelILi32ELi32E24rocblas_internal_val_ptrIfEPKPKfPKPfEvb18rocblas_operation_iiiiT1_T2_lllSB_lllSA_T3_llli
	.p2align	8
	.type	_ZL20rocblas_gbmvt_kernelILi32ELi32E24rocblas_internal_val_ptrIfEPKPKfPKPfEvb18rocblas_operation_iiiiT1_T2_lllSB_lllSA_T3_llli,@function
_ZL20rocblas_gbmvt_kernelILi32ELi32E24rocblas_internal_val_ptrIfEPKPKfPKPfEvb18rocblas_operation_iiiiT1_T2_lllSB_lllSA_T3_llli: ; @_ZL20rocblas_gbmvt_kernelILi32ELi32E24rocblas_internal_val_ptrIfEPKPKfPKPfEvb18rocblas_operation_iiiiT1_T2_lllSB_lllSA_T3_llli
; %bb.0:
	s_load_b256 s[4:11], s[2:3], 0x18
	s_load_b64 s[20:21], s[0:1], 0x4
	s_load_b256 s[12:19], s[2:3], 0x60
	v_bfe_u32 v1, v0, 10, 10
	s_load_b32 s28, s[2:3], 0x88
	v_and_b32_e32 v18, 0x3ff, v0
	s_wait_xcnt 0x0
	s_lshr_b32 s1, ttmp7, 16
	v_bfe_u32 v0, v0, 20, 10
	s_wait_kmcnt 0x0
	v_dual_mov_b32 v2, s4 :: v_dual_mov_b32 v3, s5
	v_mul_u32_u24_e32 v5, s21, v1
	s_lshr_b32 s0, s20, 16
	s_bfe_u32 s5, ttmp6, 0x40008
	s_mul_i32 s0, s0, s21
	v_mov_b32_e32 v4, s12
	v_mad_u32 v6, s0, v18, v5
	s_bfe_u32 s0, ttmp6, 0x40014
	v_mov_b32_e32 v5, s13
	s_add_co_i32 s0, s0, 1
	s_delay_alu instid0(SALU_CYCLE_1) | instskip(SKIP_4) | instid1(VALU_DEP_2)
	s_mul_i32 s4, s1, s0
	s_getreg_b32 s0, hwreg(HW_REG_IB_STS2, 6, 4)
	s_add_co_i32 s5, s5, s4
	s_cmp_eq_u32 s0, 0
	s_cselect_b32 s4, s1, s5
	v_add_lshl_u32 v19, v6, v0, 3
	s_cmp_ge_u32 s4, s28
	s_mov_b32 s5, 0
	ds_store_2addr_stride64_b64 v19, v[4:5], v[2:3] offset1:16
	s_cbranch_scc1 .LBB30_33
; %bb.1:
	s_clause 0x2
	s_load_b32 s1, s[2:3], 0x0
	s_load_b128 s[20:23], s[2:3], 0x8
	s_load_b64 s[30:31], s[2:3], 0x50
	v_dual_mov_b32 v7, 0 :: v_dual_lshlrev_b32 v6, 2, v18
	s_wait_kmcnt 0x0
	s_bitcmp1_b32 s1, 0
	s_cselect_b32 s1, -1, 0
	s_bfe_u32 s12, ttmp6, 0x4000c
	s_and_b32 s13, ttmp6, 15
	s_add_co_i32 s12, s12, 1
	s_delay_alu instid0(SALU_CYCLE_1)
	s_mul_i32 s24, ttmp9, s12
	s_xor_b32 s12, s1, -1
	s_add_co_i32 s13, s13, s24
	s_cmp_eq_u32 s0, 0
	s_load_b128 s[24:27], s[2:3], 0x40
	s_cselect_b32 s0, ttmp9, s13
	s_add_co_i32 s13, s23, s22
	v_lshl_add_u32 v0, s0, 5, v1
	v_sub_nc_u32_e32 v2, s23, v18
	v_cmp_ge_i32_e64 s1, s13, v18
	s_wait_xcnt 0x0
	v_cmp_eq_u32_e64 s2, 0, v18
	s_lshl_b64 s[8:9], s[8:9], 2
	v_dual_ashrrev_i32 v1, 31, v0 :: v_dual_ashrrev_i32 v3, 31, v2
	v_cmp_gt_i32_e64 s0, s21, v0
	s_delay_alu instid0(VALU_DEP_2) | instskip(NEXT) | instid1(VALU_DEP_3)
	v_mul_u64_e32 v[10:11], s[10:11], v[0:1]
	v_sub_nc_u64_e32 v[4:5], v[0:1], v[2:3]
	v_mbcnt_lo_u32_b32 v3, -1, 0
	s_lshl_b64 s[10:11], s[30:31], 7
	s_delay_alu instid0(VALU_DEP_2)
	v_mul_u64_e32 v[8:9], s[30:31], v[4:5]
	v_mul_u64_e32 v[4:5], s[18:19], v[0:1]
	v_add_nc_u32_e32 v1, 0x2000, v19
	v_lshl_add_u64 v[10:11], v[10:11], 2, v[6:7]
	v_lshl_or_b32 v6, v3, 2, 64
	v_lshlrev_b64_e32 v[8:9], 2, v[8:9]
	s_branch .LBB30_4
.LBB30_2:                               ;   in Loop: Header=BB30_4 Depth=1
	s_wait_xcnt 0x0
	s_or_b32 exec_lo, exec_lo, s3
	flat_store_b32 v[12:13], v22
.LBB30_3:                               ;   in Loop: Header=BB30_4 Depth=1
	s_wait_xcnt 0x0
	s_or_b32 exec_lo, exec_lo, s18
	s_add_co_i32 s4, s4, 0x10000
	s_delay_alu instid0(SALU_CYCLE_1)
	s_cmp_lt_u32 s4, s28
	s_cbranch_scc0 .LBB30_33
.LBB30_4:                               ; =>This Loop Header: Depth=1
                                        ;     Child Loop BB30_25 Depth 2
	s_and_b32 vcc_lo, exec_lo, s12
	s_mov_b32 s3, -1
                                        ; implicit-def: $vgpr20
	s_cbranch_vccnz .LBB30_15
; %bb.5:                                ;   in Loop: Header=BB30_4 Depth=1
	s_and_not1_b32 vcc_lo, exec_lo, s3
	s_cbranch_vccz .LBB30_16
.LBB30_6:                               ;   in Loop: Header=BB30_4 Depth=1
	s_and_b32 vcc_lo, exec_lo, s12
	s_mov_b32 s3, -1
                                        ; implicit-def: $vgpr21
	s_cbranch_vccnz .LBB30_17
.LBB30_7:                               ;   in Loop: Header=BB30_4 Depth=1
	s_and_not1_b32 vcc_lo, exec_lo, s3
	s_cbranch_vccnz .LBB30_9
.LBB30_8:                               ;   in Loop: Header=BB30_4 Depth=1
	s_wait_loadcnt_dscnt 0x0
	ds_load_b32 v21, v19
.LBB30_9:                               ;   in Loop: Header=BB30_4 Depth=1
	s_wait_loadcnt_dscnt 0x0
	v_cmp_neq_f32_e32 vcc_lo, 0, v20
	v_cmp_neq_f32_e64 s3, 1.0, v21
	s_or_b32 s3, vcc_lo, s3
	s_wait_xcnt 0x0
	s_and_saveexec_b32 s18, s3
	s_cbranch_execz .LBB30_3
; %bb.10:                               ;   in Loop: Header=BB30_4 Depth=1
	v_mov_b64_e32 v[12:13], s[4:5]
	v_cmp_eq_f32_e64 s3, 0, v20
	v_cmp_neq_f32_e32 vcc_lo, 0, v20
	s_and_saveexec_b32 s19, s3
	s_delay_alu instid0(SALU_CYCLE_1)
	s_xor_b32 s3, exec_lo, s19
; %bb.11:                               ;   in Loop: Header=BB30_4 Depth=1
	v_mov_b64_e32 v[12:13], s[4:5]
; %bb.12:                               ;   in Loop: Header=BB30_4 Depth=1
	s_or_saveexec_b32 s3, s3
	v_mov_b64_e32 v[16:17], 0
	v_mov_b64_e32 v[14:15], 0
	s_xor_b32 exec_lo, exec_lo, s3
	s_cbranch_execnz .LBB30_18
; %bb.13:                               ;   in Loop: Header=BB30_4 Depth=1
	s_or_b32 exec_lo, exec_lo, s3
	s_and_saveexec_b32 s3, vcc_lo
	s_cbranch_execnz .LBB30_19
.LBB30_14:                              ;   in Loop: Header=BB30_4 Depth=1
	s_or_b32 exec_lo, exec_lo, s3
	s_delay_alu instid0(SALU_CYCLE_1)
	s_and_b32 exec_lo, exec_lo, s0
	s_cbranch_execz .LBB30_3
	s_branch .LBB30_20
.LBB30_15:                              ;   in Loop: Header=BB30_4 Depth=1
	s_wait_loadcnt 0x0
	ds_load_b64 v[12:13], v1
	s_wait_dscnt 0x0
	flat_load_b32 v20, v[12:13]
	s_cbranch_execnz .LBB30_6
.LBB30_16:                              ;   in Loop: Header=BB30_4 Depth=1
	s_wait_loadcnt_dscnt 0x0
	ds_load_b32 v20, v1
	s_and_b32 vcc_lo, exec_lo, s12
	s_mov_b32 s3, -1
                                        ; implicit-def: $vgpr21
	s_cbranch_vccz .LBB30_7
.LBB30_17:                              ;   in Loop: Header=BB30_4 Depth=1
	s_wait_xcnt 0x0
	s_wait_loadcnt 0x0
	ds_load_b64 v[12:13], v19
	s_wait_dscnt 0x0
	flat_load_b32 v21, v[12:13]
	s_cbranch_execz .LBB30_8
	s_branch .LBB30_9
.LBB30_18:                              ;   in Loop: Header=BB30_4 Depth=1
	s_lshl_b64 s[30:31], s[4:5], 3
	s_delay_alu instid0(SALU_CYCLE_1)
	s_add_nc_u64 s[30:31], s[6:7], s[30:31]
	global_load_b64 v[14:15], v7, s[30:31]
	s_wait_loadcnt 0x0
	v_add_nc_u64_e32 v[14:15], s[8:9], v[14:15]
	s_wait_xcnt 0x0
	s_or_b32 exec_lo, exec_lo, s3
	s_and_saveexec_b32 s3, vcc_lo
	s_cbranch_execz .LBB30_14
.LBB30_19:                              ;   in Loop: Header=BB30_4 Depth=1
	s_wait_kmcnt 0x0
	v_lshl_add_u64 v[16:17], v[12:13], 3, s[24:25]
	global_load_b64 v[16:17], v[16:17], off
	s_wait_loadcnt 0x0
	s_wait_xcnt 0x0
	v_lshl_add_u64 v[16:17], s[26:27], 2, v[16:17]
	s_or_b32 exec_lo, exec_lo, s3
	s_delay_alu instid0(SALU_CYCLE_1)
	s_and_b32 exec_lo, exec_lo, s0
	s_cbranch_execz .LBB30_3
.LBB30_20:                              ;   in Loop: Header=BB30_4 Depth=1
	v_lshl_add_u64 v[12:13], v[12:13], 3, s[14:15]
	v_mov_b32_e32 v22, 0
	global_load_b64 v[12:13], v[12:13], off
	s_wait_xcnt 0x0
	s_and_saveexec_b32 s19, vcc_lo
	s_cbranch_execz .LBB30_30
; %bb.21:                               ;   in Loop: Header=BB30_4 Depth=1
	v_mov_b32_e32 v22, 0
	s_and_saveexec_b32 s21, s1
	s_cbranch_execz .LBB30_29
; %bb.22:                               ;   in Loop: Header=BB30_4 Depth=1
	v_add_nc_u64_e32 v[14:15], v[14:15], v[10:11]
	v_add_nc_u64_e32 v[16:17], v[16:17], v[8:9]
	v_dual_mov_b32 v22, 0 :: v_dual_mov_b32 v23, v2
	v_mov_b32_e32 v24, v18
	s_mov_b32 s22, 0
	s_branch .LBB30_25
.LBB30_23:                              ;   in Loop: Header=BB30_25 Depth=2
	s_wait_xcnt 0x0
	s_or_b32 exec_lo, exec_lo, s3
.LBB30_24:                              ;   in Loop: Header=BB30_25 Depth=2
	s_delay_alu instid0(SALU_CYCLE_1) | instskip(SKIP_4) | instid1(VALU_DEP_4)
	s_or_b32 exec_lo, exec_lo, s29
	v_add_nc_u32_e32 v24, 32, v24
	v_add_nc_u64_e32 v[14:15], 0x80, v[14:15]
	v_add_nc_u64_e32 v[16:17], s[10:11], v[16:17]
	v_subrev_nc_u32_e32 v23, 32, v23
	v_cmp_lt_i32_e32 vcc_lo, s13, v24
	s_or_b32 s22, vcc_lo, s22
	s_delay_alu instid0(SALU_CYCLE_1)
	s_and_not1_b32 exec_lo, exec_lo, s22
	s_cbranch_execz .LBB30_28
.LBB30_25:                              ;   Parent Loop BB30_4 Depth=1
                                        ; =>  This Inner Loop Header: Depth=2
	s_delay_alu instid0(VALU_DEP_2) | instskip(SKIP_1) | instid1(VALU_DEP_1)
	v_add_nc_u32_e32 v25, s20, v23
	s_mov_b32 s29, exec_lo
	v_cmpx_lt_i32_e64 v0, v25
	s_cbranch_execz .LBB30_24
; %bb.26:                               ;   in Loop: Header=BB30_25 Depth=2
	v_cmp_lt_i32_e32 vcc_lo, s23, v24
	v_cmp_ge_i32_e64 s3, v0, v23
	s_or_b32 s30, vcc_lo, s3
	s_delay_alu instid0(SALU_CYCLE_1)
	s_and_saveexec_b32 s3, s30
	s_cbranch_execz .LBB30_23
; %bb.27:                               ;   in Loop: Header=BB30_25 Depth=2
	flat_load_b32 v25, v[14:15]
	flat_load_b32 v26, v[16:17]
	s_wait_loadcnt_dscnt 0x0
	v_fmac_f32_e32 v22, v25, v26
	s_branch .LBB30_23
.LBB30_28:                              ;   in Loop: Header=BB30_4 Depth=1
	s_or_b32 exec_lo, exec_lo, s22
.LBB30_29:                              ;   in Loop: Header=BB30_4 Depth=1
	s_delay_alu instid0(SALU_CYCLE_1)
	s_or_b32 exec_lo, exec_lo, s21
	ds_bpermute_b32 v14, v6, v22
	v_cmp_gt_u32_e32 vcc_lo, 24, v3
	s_wait_loadcnt_dscnt 0x0
	s_barrier_signal -1
	s_barrier_wait -1
	v_cndmask_b32_e64 v15, 0, 8, vcc_lo
	v_cmp_gt_u32_e32 vcc_lo, 28, v3
	s_delay_alu instid0(VALU_DEP_2) | instskip(SKIP_2) | instid1(VALU_DEP_2)
	v_add_lshl_u32 v15, v15, v3, 2
	v_cndmask_b32_e64 v16, 0, 4, vcc_lo
	v_cmp_gt_u32_e32 vcc_lo, 30, v3
	v_add_lshl_u32 v16, v16, v3, 2
	v_add_f32_e32 v14, v22, v14
	ds_bpermute_b32 v15, v15, v14
	s_wait_dscnt 0x0
	v_add_f32_e32 v14, v14, v15
	ds_bpermute_b32 v15, v16, v14
	v_cndmask_b32_e64 v16, 0, 2, vcc_lo
	v_cmp_ne_u32_e32 vcc_lo, 31, v3
	s_delay_alu instid0(VALU_DEP_2)
	v_add_lshl_u32 v16, v16, v3, 2
	s_wait_dscnt 0x0
	v_add_f32_e32 v14, v14, v15
	ds_bpermute_b32 v15, v16, v14
	v_add_co_ci_u32_e64 v16, null, 0, v3, vcc_lo
	s_wait_dscnt 0x0
	s_delay_alu instid0(VALU_DEP_1) | instskip(SKIP_3) | instid1(VALU_DEP_1)
	v_dual_add_f32 v14, v14, v15 :: v_dual_lshlrev_b32 v15, 2, v16
	ds_bpermute_b32 v15, v15, v14
	s_wait_dscnt 0x0
	v_add_f32_e32 v14, v14, v15
	v_mul_f32_e32 v22, v20, v14
.LBB30_30:                              ;   in Loop: Header=BB30_4 Depth=1
	s_or_b32 exec_lo, exec_lo, s19
	s_delay_alu instid0(SALU_CYCLE_1)
	s_and_b32 exec_lo, exec_lo, s2
	s_cbranch_execz .LBB30_3
; %bb.31:                               ;   in Loop: Header=BB30_4 Depth=1
	s_wait_loadcnt 0x0
	v_lshl_add_u64 v[12:13], s[16:17], 2, v[12:13]
	s_mov_b32 s3, exec_lo
	s_delay_alu instid0(VALU_DEP_1)
	v_lshl_add_u64 v[12:13], v[4:5], 2, v[12:13]
	v_cmpx_neq_f32_e32 0, v21
	s_cbranch_execz .LBB30_2
; %bb.32:                               ;   in Loop: Header=BB30_4 Depth=1
	flat_load_b32 v14, v[12:13]
	s_wait_loadcnt_dscnt 0x0
	v_fmac_f32_e32 v22, v21, v14
	s_branch .LBB30_2
.LBB30_33:
	s_endpgm
	.section	.rodata,"a",@progbits
	.p2align	6, 0x0
	.amdhsa_kernel _ZL20rocblas_gbmvt_kernelILi32ELi32E24rocblas_internal_val_ptrIfEPKPKfPKPfEvb18rocblas_operation_iiiiT1_T2_lllSB_lllSA_T3_llli
		.amdhsa_group_segment_fixed_size 16384
		.amdhsa_private_segment_fixed_size 0
		.amdhsa_kernarg_size 140
		.amdhsa_user_sgpr_count 4
		.amdhsa_user_sgpr_dispatch_ptr 1
		.amdhsa_user_sgpr_queue_ptr 0
		.amdhsa_user_sgpr_kernarg_segment_ptr 1
		.amdhsa_user_sgpr_dispatch_id 0
		.amdhsa_user_sgpr_kernarg_preload_length 0
		.amdhsa_user_sgpr_kernarg_preload_offset 0
		.amdhsa_user_sgpr_private_segment_size 0
		.amdhsa_wavefront_size32 1
		.amdhsa_uses_dynamic_stack 0
		.amdhsa_enable_private_segment 0
		.amdhsa_system_sgpr_workgroup_id_x 1
		.amdhsa_system_sgpr_workgroup_id_y 0
		.amdhsa_system_sgpr_workgroup_id_z 1
		.amdhsa_system_sgpr_workgroup_info 0
		.amdhsa_system_vgpr_workitem_id 2
		.amdhsa_next_free_vgpr 27
		.amdhsa_next_free_sgpr 32
		.amdhsa_named_barrier_count 0
		.amdhsa_reserve_vcc 1
		.amdhsa_float_round_mode_32 0
		.amdhsa_float_round_mode_16_64 0
		.amdhsa_float_denorm_mode_32 3
		.amdhsa_float_denorm_mode_16_64 3
		.amdhsa_fp16_overflow 0
		.amdhsa_memory_ordered 1
		.amdhsa_forward_progress 1
		.amdhsa_inst_pref_size 11
		.amdhsa_round_robin_scheduling 0
		.amdhsa_exception_fp_ieee_invalid_op 0
		.amdhsa_exception_fp_denorm_src 0
		.amdhsa_exception_fp_ieee_div_zero 0
		.amdhsa_exception_fp_ieee_overflow 0
		.amdhsa_exception_fp_ieee_underflow 0
		.amdhsa_exception_fp_ieee_inexact 0
		.amdhsa_exception_int_div_zero 0
	.end_amdhsa_kernel
	.section	.text._ZL20rocblas_gbmvt_kernelILi32ELi32E24rocblas_internal_val_ptrIfEPKPKfPKPfEvb18rocblas_operation_iiiiT1_T2_lllSB_lllSA_T3_llli,"axG",@progbits,_ZL20rocblas_gbmvt_kernelILi32ELi32E24rocblas_internal_val_ptrIfEPKPKfPKPfEvb18rocblas_operation_iiiiT1_T2_lllSB_lllSA_T3_llli,comdat
.Lfunc_end30:
	.size	_ZL20rocblas_gbmvt_kernelILi32ELi32E24rocblas_internal_val_ptrIfEPKPKfPKPfEvb18rocblas_operation_iiiiT1_T2_lllSB_lllSA_T3_llli, .Lfunc_end30-_ZL20rocblas_gbmvt_kernelILi32ELi32E24rocblas_internal_val_ptrIfEPKPKfPKPfEvb18rocblas_operation_iiiiT1_T2_lllSB_lllSA_T3_llli
                                        ; -- End function
	.set _ZL20rocblas_gbmvt_kernelILi32ELi32E24rocblas_internal_val_ptrIfEPKPKfPKPfEvb18rocblas_operation_iiiiT1_T2_lllSB_lllSA_T3_llli.num_vgpr, 27
	.set _ZL20rocblas_gbmvt_kernelILi32ELi32E24rocblas_internal_val_ptrIfEPKPKfPKPfEvb18rocblas_operation_iiiiT1_T2_lllSB_lllSA_T3_llli.num_agpr, 0
	.set _ZL20rocblas_gbmvt_kernelILi32ELi32E24rocblas_internal_val_ptrIfEPKPKfPKPfEvb18rocblas_operation_iiiiT1_T2_lllSB_lllSA_T3_llli.numbered_sgpr, 32
	.set _ZL20rocblas_gbmvt_kernelILi32ELi32E24rocblas_internal_val_ptrIfEPKPKfPKPfEvb18rocblas_operation_iiiiT1_T2_lllSB_lllSA_T3_llli.num_named_barrier, 0
	.set _ZL20rocblas_gbmvt_kernelILi32ELi32E24rocblas_internal_val_ptrIfEPKPKfPKPfEvb18rocblas_operation_iiiiT1_T2_lllSB_lllSA_T3_llli.private_seg_size, 0
	.set _ZL20rocblas_gbmvt_kernelILi32ELi32E24rocblas_internal_val_ptrIfEPKPKfPKPfEvb18rocblas_operation_iiiiT1_T2_lllSB_lllSA_T3_llli.uses_vcc, 1
	.set _ZL20rocblas_gbmvt_kernelILi32ELi32E24rocblas_internal_val_ptrIfEPKPKfPKPfEvb18rocblas_operation_iiiiT1_T2_lllSB_lllSA_T3_llli.uses_flat_scratch, 0
	.set _ZL20rocblas_gbmvt_kernelILi32ELi32E24rocblas_internal_val_ptrIfEPKPKfPKPfEvb18rocblas_operation_iiiiT1_T2_lllSB_lllSA_T3_llli.has_dyn_sized_stack, 0
	.set _ZL20rocblas_gbmvt_kernelILi32ELi32E24rocblas_internal_val_ptrIfEPKPKfPKPfEvb18rocblas_operation_iiiiT1_T2_lllSB_lllSA_T3_llli.has_recursion, 0
	.set _ZL20rocblas_gbmvt_kernelILi32ELi32E24rocblas_internal_val_ptrIfEPKPKfPKPfEvb18rocblas_operation_iiiiT1_T2_lllSB_lllSA_T3_llli.has_indirect_call, 0
	.section	.AMDGPU.csdata,"",@progbits
; Kernel info:
; codeLenInByte = 1308
; TotalNumSgprs: 34
; NumVgprs: 27
; ScratchSize: 0
; MemoryBound: 0
; FloatMode: 240
; IeeeMode: 1
; LDSByteSize: 16384 bytes/workgroup (compile time only)
; SGPRBlocks: 0
; VGPRBlocks: 1
; NumSGPRsForWavesPerEU: 34
; NumVGPRsForWavesPerEU: 27
; NamedBarCnt: 0
; Occupancy: 16
; WaveLimiterHint : 1
; COMPUTE_PGM_RSRC2:SCRATCH_EN: 0
; COMPUTE_PGM_RSRC2:USER_SGPR: 4
; COMPUTE_PGM_RSRC2:TRAP_HANDLER: 0
; COMPUTE_PGM_RSRC2:TGID_X_EN: 1
; COMPUTE_PGM_RSRC2:TGID_Y_EN: 0
; COMPUTE_PGM_RSRC2:TGID_Z_EN: 1
; COMPUTE_PGM_RSRC2:TIDIG_COMP_CNT: 2
	.section	.text._ZL20rocblas_gbmvt_kernelILi64ELi16E24rocblas_internal_val_ptrIfEPKPKfPKPfEvb18rocblas_operation_iiiiT1_T2_lllSB_lllSA_T3_llli,"axG",@progbits,_ZL20rocblas_gbmvt_kernelILi64ELi16E24rocblas_internal_val_ptrIfEPKPKfPKPfEvb18rocblas_operation_iiiiT1_T2_lllSB_lllSA_T3_llli,comdat
	.globl	_ZL20rocblas_gbmvt_kernelILi64ELi16E24rocblas_internal_val_ptrIfEPKPKfPKPfEvb18rocblas_operation_iiiiT1_T2_lllSB_lllSA_T3_llli ; -- Begin function _ZL20rocblas_gbmvt_kernelILi64ELi16E24rocblas_internal_val_ptrIfEPKPKfPKPfEvb18rocblas_operation_iiiiT1_T2_lllSB_lllSA_T3_llli
	.p2align	8
	.type	_ZL20rocblas_gbmvt_kernelILi64ELi16E24rocblas_internal_val_ptrIfEPKPKfPKPfEvb18rocblas_operation_iiiiT1_T2_lllSB_lllSA_T3_llli,@function
_ZL20rocblas_gbmvt_kernelILi64ELi16E24rocblas_internal_val_ptrIfEPKPKfPKPfEvb18rocblas_operation_iiiiT1_T2_lllSB_lllSA_T3_llli: ; @_ZL20rocblas_gbmvt_kernelILi64ELi16E24rocblas_internal_val_ptrIfEPKPKfPKPfEvb18rocblas_operation_iiiiT1_T2_lllSB_lllSA_T3_llli
; %bb.0:
	s_load_b256 s[4:11], s[2:3], 0x18
	s_load_b64 s[20:21], s[0:1], 0x4
	s_load_b256 s[12:19], s[2:3], 0x60
	v_bfe_u32 v1, v0, 10, 10
	s_load_b32 s28, s[2:3], 0x88
	v_and_b32_e32 v18, 0x3ff, v0
	s_wait_xcnt 0x0
	s_lshr_b32 s1, ttmp7, 16
	v_bfe_u32 v0, v0, 20, 10
	s_wait_kmcnt 0x0
	v_dual_mov_b32 v2, s4 :: v_dual_mov_b32 v3, s5
	v_mul_u32_u24_e32 v5, s21, v1
	s_lshr_b32 s0, s20, 16
	s_bfe_u32 s5, ttmp6, 0x40008
	s_mul_i32 s0, s0, s21
	v_mov_b32_e32 v4, s12
	v_mad_u32 v6, s0, v18, v5
	s_bfe_u32 s0, ttmp6, 0x40014
	v_mov_b32_e32 v5, s13
	s_add_co_i32 s0, s0, 1
	s_delay_alu instid0(SALU_CYCLE_1) | instskip(SKIP_4) | instid1(VALU_DEP_2)
	s_mul_i32 s4, s1, s0
	s_getreg_b32 s0, hwreg(HW_REG_IB_STS2, 6, 4)
	s_add_co_i32 s5, s5, s4
	s_cmp_eq_u32 s0, 0
	s_cselect_b32 s4, s1, s5
	v_add_lshl_u32 v19, v6, v0, 3
	s_cmp_ge_u32 s4, s28
	s_mov_b32 s5, 0
	ds_store_2addr_stride64_b64 v19, v[4:5], v[2:3] offset1:16
	s_cbranch_scc1 .LBB31_33
; %bb.1:
	s_clause 0x2
	s_load_b32 s1, s[2:3], 0x0
	s_load_b128 s[20:23], s[2:3], 0x8
	s_load_b64 s[30:31], s[2:3], 0x50
	v_mov_b32_e32 v7, 0
	s_wait_kmcnt 0x0
	s_bitcmp1_b32 s1, 0
	s_cselect_b32 s1, -1, 0
	s_bfe_u32 s12, ttmp6, 0x4000c
	s_and_b32 s13, ttmp6, 15
	s_add_co_i32 s12, s12, 1
	s_delay_alu instid0(SALU_CYCLE_1)
	s_mul_i32 s24, ttmp9, s12
	s_xor_b32 s12, s1, -1
	s_add_co_i32 s13, s13, s24
	s_cmp_eq_u32 s0, 0
	s_load_b128 s[24:27], s[2:3], 0x40
	s_cselect_b32 s0, ttmp9, s13
	s_add_co_i32 s13, s23, s22
	v_lshl_add_u32 v0, s0, 4, v1
	v_sub_nc_u32_e32 v2, s23, v18
	v_cmp_ge_i32_e64 s1, s13, v18
	s_wait_xcnt 0x0
	v_cmp_eq_u32_e64 s2, 0, v18
	s_lshl_b64 s[8:9], s[8:9], 2
	v_dual_ashrrev_i32 v1, 31, v0 :: v_dual_ashrrev_i32 v3, 31, v2
	v_cmp_gt_i32_e64 s0, s21, v0
	s_delay_alu instid0(VALU_DEP_2) | instskip(NEXT) | instid1(VALU_DEP_3)
	v_mul_u64_e32 v[10:11], s[10:11], v[0:1]
	v_sub_nc_u64_e32 v[4:5], v[0:1], v[2:3]
	v_mbcnt_lo_u32_b32 v3, -1, 0
	v_lshlrev_b32_e32 v6, 2, v18
	s_lshl_b64 s[10:11], s[30:31], 8
	s_delay_alu instid0(VALU_DEP_2) | instskip(NEXT) | instid1(VALU_DEP_4)
	v_lshlrev_b32_e32 v20, 2, v3
	v_mul_u64_e32 v[8:9], s[30:31], v[4:5]
	v_mul_u64_e32 v[4:5], s[18:19], v[0:1]
	v_add_nc_u32_e32 v1, 0x2000, v19
	v_lshl_add_u64 v[10:11], v[10:11], 2, v[6:7]
	v_or_b32_e32 v6, 64, v20
	v_lshlrev_b64_e32 v[8:9], 2, v[8:9]
	s_branch .LBB31_4
.LBB31_2:                               ;   in Loop: Header=BB31_4 Depth=1
	s_wait_xcnt 0x0
	s_or_b32 exec_lo, exec_lo, s3
	flat_store_b32 v[12:13], v23
.LBB31_3:                               ;   in Loop: Header=BB31_4 Depth=1
	s_wait_xcnt 0x0
	s_or_b32 exec_lo, exec_lo, s18
	s_add_co_i32 s4, s4, 0x10000
	s_delay_alu instid0(SALU_CYCLE_1)
	s_cmp_lt_u32 s4, s28
	s_cbranch_scc0 .LBB31_33
.LBB31_4:                               ; =>This Loop Header: Depth=1
                                        ;     Child Loop BB31_25 Depth 2
	s_and_b32 vcc_lo, exec_lo, s12
	s_mov_b32 s3, -1
                                        ; implicit-def: $vgpr21
	s_cbranch_vccnz .LBB31_15
; %bb.5:                                ;   in Loop: Header=BB31_4 Depth=1
	s_and_not1_b32 vcc_lo, exec_lo, s3
	s_cbranch_vccz .LBB31_16
.LBB31_6:                               ;   in Loop: Header=BB31_4 Depth=1
	s_and_b32 vcc_lo, exec_lo, s12
	s_mov_b32 s3, -1
                                        ; implicit-def: $vgpr22
	s_cbranch_vccnz .LBB31_17
.LBB31_7:                               ;   in Loop: Header=BB31_4 Depth=1
	s_and_not1_b32 vcc_lo, exec_lo, s3
	s_cbranch_vccnz .LBB31_9
.LBB31_8:                               ;   in Loop: Header=BB31_4 Depth=1
	s_wait_loadcnt_dscnt 0x0
	ds_load_b32 v22, v19
.LBB31_9:                               ;   in Loop: Header=BB31_4 Depth=1
	s_wait_loadcnt_dscnt 0x0
	v_cmp_neq_f32_e32 vcc_lo, 0, v21
	v_cmp_neq_f32_e64 s3, 1.0, v22
	s_or_b32 s3, vcc_lo, s3
	s_wait_xcnt 0x0
	s_and_saveexec_b32 s18, s3
	s_cbranch_execz .LBB31_3
; %bb.10:                               ;   in Loop: Header=BB31_4 Depth=1
	v_mov_b64_e32 v[12:13], s[4:5]
	v_cmp_eq_f32_e64 s3, 0, v21
	v_cmp_neq_f32_e32 vcc_lo, 0, v21
	s_and_saveexec_b32 s19, s3
	s_delay_alu instid0(SALU_CYCLE_1)
	s_xor_b32 s3, exec_lo, s19
; %bb.11:                               ;   in Loop: Header=BB31_4 Depth=1
	v_mov_b64_e32 v[12:13], s[4:5]
; %bb.12:                               ;   in Loop: Header=BB31_4 Depth=1
	s_or_saveexec_b32 s3, s3
	v_mov_b64_e32 v[16:17], 0
	v_mov_b64_e32 v[14:15], 0
	s_xor_b32 exec_lo, exec_lo, s3
	s_cbranch_execnz .LBB31_18
; %bb.13:                               ;   in Loop: Header=BB31_4 Depth=1
	s_or_b32 exec_lo, exec_lo, s3
	s_and_saveexec_b32 s3, vcc_lo
	s_cbranch_execnz .LBB31_19
.LBB31_14:                              ;   in Loop: Header=BB31_4 Depth=1
	s_or_b32 exec_lo, exec_lo, s3
	s_delay_alu instid0(SALU_CYCLE_1)
	s_and_b32 exec_lo, exec_lo, s0
	s_cbranch_execz .LBB31_3
	s_branch .LBB31_20
.LBB31_15:                              ;   in Loop: Header=BB31_4 Depth=1
	s_wait_loadcnt 0x0
	ds_load_b64 v[12:13], v1
	s_wait_dscnt 0x0
	flat_load_b32 v21, v[12:13]
	s_cbranch_execnz .LBB31_6
.LBB31_16:                              ;   in Loop: Header=BB31_4 Depth=1
	s_wait_loadcnt_dscnt 0x0
	ds_load_b32 v21, v1
	s_and_b32 vcc_lo, exec_lo, s12
	s_mov_b32 s3, -1
                                        ; implicit-def: $vgpr22
	s_cbranch_vccz .LBB31_7
.LBB31_17:                              ;   in Loop: Header=BB31_4 Depth=1
	s_wait_xcnt 0x0
	s_wait_loadcnt 0x0
	ds_load_b64 v[12:13], v19
	s_wait_dscnt 0x0
	flat_load_b32 v22, v[12:13]
	s_cbranch_execz .LBB31_8
	s_branch .LBB31_9
.LBB31_18:                              ;   in Loop: Header=BB31_4 Depth=1
	s_lshl_b64 s[30:31], s[4:5], 3
	s_delay_alu instid0(SALU_CYCLE_1)
	s_add_nc_u64 s[30:31], s[6:7], s[30:31]
	global_load_b64 v[14:15], v7, s[30:31]
	s_wait_loadcnt 0x0
	v_add_nc_u64_e32 v[14:15], s[8:9], v[14:15]
	s_wait_xcnt 0x0
	s_or_b32 exec_lo, exec_lo, s3
	s_and_saveexec_b32 s3, vcc_lo
	s_cbranch_execz .LBB31_14
.LBB31_19:                              ;   in Loop: Header=BB31_4 Depth=1
	s_wait_kmcnt 0x0
	v_lshl_add_u64 v[16:17], v[12:13], 3, s[24:25]
	global_load_b64 v[16:17], v[16:17], off
	s_wait_loadcnt 0x0
	s_wait_xcnt 0x0
	v_lshl_add_u64 v[16:17], s[26:27], 2, v[16:17]
	s_or_b32 exec_lo, exec_lo, s3
	s_delay_alu instid0(SALU_CYCLE_1)
	s_and_b32 exec_lo, exec_lo, s0
	s_cbranch_execz .LBB31_3
.LBB31_20:                              ;   in Loop: Header=BB31_4 Depth=1
	v_lshl_add_u64 v[12:13], v[12:13], 3, s[14:15]
	v_mov_b32_e32 v23, 0
	global_load_b64 v[12:13], v[12:13], off
	s_wait_xcnt 0x0
	s_and_saveexec_b32 s19, vcc_lo
	s_cbranch_execz .LBB31_30
; %bb.21:                               ;   in Loop: Header=BB31_4 Depth=1
	v_mov_b32_e32 v23, 0
	s_and_saveexec_b32 s21, s1
	s_cbranch_execz .LBB31_29
; %bb.22:                               ;   in Loop: Header=BB31_4 Depth=1
	v_add_nc_u64_e32 v[14:15], v[14:15], v[10:11]
	v_add_nc_u64_e32 v[16:17], v[16:17], v[8:9]
	v_dual_mov_b32 v23, 0 :: v_dual_mov_b32 v24, v2
	v_mov_b32_e32 v25, v18
	s_mov_b32 s22, 0
	s_branch .LBB31_25
.LBB31_23:                              ;   in Loop: Header=BB31_25 Depth=2
	s_wait_xcnt 0x0
	s_or_b32 exec_lo, exec_lo, s3
.LBB31_24:                              ;   in Loop: Header=BB31_25 Depth=2
	s_delay_alu instid0(SALU_CYCLE_1) | instskip(SKIP_4) | instid1(VALU_DEP_4)
	s_or_b32 exec_lo, exec_lo, s29
	v_add_nc_u32_e32 v25, 64, v25
	v_add_nc_u64_e32 v[14:15], 0x100, v[14:15]
	v_add_nc_u64_e32 v[16:17], s[10:11], v[16:17]
	v_subrev_nc_u32_e32 v24, 64, v24
	v_cmp_lt_i32_e32 vcc_lo, s13, v25
	s_or_b32 s22, vcc_lo, s22
	s_delay_alu instid0(SALU_CYCLE_1)
	s_and_not1_b32 exec_lo, exec_lo, s22
	s_cbranch_execz .LBB31_28
.LBB31_25:                              ;   Parent Loop BB31_4 Depth=1
                                        ; =>  This Inner Loop Header: Depth=2
	s_delay_alu instid0(VALU_DEP_2) | instskip(SKIP_1) | instid1(VALU_DEP_1)
	v_add_nc_u32_e32 v26, s20, v24
	s_mov_b32 s29, exec_lo
	v_cmpx_lt_i32_e64 v0, v26
	s_cbranch_execz .LBB31_24
; %bb.26:                               ;   in Loop: Header=BB31_25 Depth=2
	v_cmp_lt_i32_e32 vcc_lo, s23, v25
	v_cmp_ge_i32_e64 s3, v0, v24
	s_or_b32 s30, vcc_lo, s3
	s_delay_alu instid0(SALU_CYCLE_1)
	s_and_saveexec_b32 s3, s30
	s_cbranch_execz .LBB31_23
; %bb.27:                               ;   in Loop: Header=BB31_25 Depth=2
	flat_load_b32 v26, v[14:15]
	flat_load_b32 v27, v[16:17]
	s_wait_loadcnt_dscnt 0x0
	v_fmac_f32_e32 v23, v26, v27
	s_branch .LBB31_23
.LBB31_28:                              ;   in Loop: Header=BB31_4 Depth=1
	s_or_b32 exec_lo, exec_lo, s22
.LBB31_29:                              ;   in Loop: Header=BB31_4 Depth=1
	s_delay_alu instid0(SALU_CYCLE_1)
	s_or_b32 exec_lo, exec_lo, s21
	ds_bpermute_b32 v14, v20, v23
	v_cmp_gt_u32_e32 vcc_lo, 24, v3
	s_wait_loadcnt_dscnt 0x0
	s_barrier_signal -1
	s_barrier_wait -1
	v_cndmask_b32_e64 v16, 0, 8, vcc_lo
	v_cmp_gt_u32_e32 vcc_lo, 28, v3
	s_delay_alu instid0(VALU_DEP_2)
	v_add_lshl_u32 v16, v16, v3, 2
	v_add_f32_e32 v14, v23, v14
	ds_bpermute_b32 v15, v6, v14
	s_wait_dscnt 0x0
	v_add_f32_e32 v14, v14, v15
	ds_bpermute_b32 v15, v16, v14
	v_cndmask_b32_e64 v16, 0, 4, vcc_lo
	v_cmp_gt_u32_e32 vcc_lo, 30, v3
	s_delay_alu instid0(VALU_DEP_2)
	v_add_lshl_u32 v16, v16, v3, 2
	s_wait_dscnt 0x0
	v_add_f32_e32 v14, v14, v15
	ds_bpermute_b32 v15, v16, v14
	v_cndmask_b32_e64 v16, 0, 2, vcc_lo
	v_cmp_ne_u32_e32 vcc_lo, 31, v3
	s_delay_alu instid0(VALU_DEP_2)
	v_add_lshl_u32 v16, v16, v3, 2
	s_wait_dscnt 0x0
	v_add_f32_e32 v14, v14, v15
	ds_bpermute_b32 v15, v16, v14
	v_add_co_ci_u32_e64 v16, null, 0, v3, vcc_lo
	s_wait_dscnt 0x0
	s_delay_alu instid0(VALU_DEP_1) | instskip(SKIP_3) | instid1(VALU_DEP_1)
	v_dual_add_f32 v14, v14, v15 :: v_dual_lshlrev_b32 v15, 2, v16
	ds_bpermute_b32 v15, v15, v14
	s_wait_dscnt 0x0
	v_add_f32_e32 v14, v14, v15
	v_mul_f32_e32 v23, v21, v14
.LBB31_30:                              ;   in Loop: Header=BB31_4 Depth=1
	s_or_b32 exec_lo, exec_lo, s19
	s_delay_alu instid0(SALU_CYCLE_1)
	s_and_b32 exec_lo, exec_lo, s2
	s_cbranch_execz .LBB31_3
; %bb.31:                               ;   in Loop: Header=BB31_4 Depth=1
	s_wait_loadcnt 0x0
	v_lshl_add_u64 v[12:13], s[16:17], 2, v[12:13]
	s_mov_b32 s3, exec_lo
	s_delay_alu instid0(VALU_DEP_1)
	v_lshl_add_u64 v[12:13], v[4:5], 2, v[12:13]
	v_cmpx_neq_f32_e32 0, v22
	s_cbranch_execz .LBB31_2
; %bb.32:                               ;   in Loop: Header=BB31_4 Depth=1
	flat_load_b32 v14, v[12:13]
	s_wait_loadcnt_dscnt 0x0
	v_fmac_f32_e32 v23, v22, v14
	s_branch .LBB31_2
.LBB31_33:
	s_endpgm
	.section	.rodata,"a",@progbits
	.p2align	6, 0x0
	.amdhsa_kernel _ZL20rocblas_gbmvt_kernelILi64ELi16E24rocblas_internal_val_ptrIfEPKPKfPKPfEvb18rocblas_operation_iiiiT1_T2_lllSB_lllSA_T3_llli
		.amdhsa_group_segment_fixed_size 16384
		.amdhsa_private_segment_fixed_size 0
		.amdhsa_kernarg_size 140
		.amdhsa_user_sgpr_count 4
		.amdhsa_user_sgpr_dispatch_ptr 1
		.amdhsa_user_sgpr_queue_ptr 0
		.amdhsa_user_sgpr_kernarg_segment_ptr 1
		.amdhsa_user_sgpr_dispatch_id 0
		.amdhsa_user_sgpr_kernarg_preload_length 0
		.amdhsa_user_sgpr_kernarg_preload_offset 0
		.amdhsa_user_sgpr_private_segment_size 0
		.amdhsa_wavefront_size32 1
		.amdhsa_uses_dynamic_stack 0
		.amdhsa_enable_private_segment 0
		.amdhsa_system_sgpr_workgroup_id_x 1
		.amdhsa_system_sgpr_workgroup_id_y 0
		.amdhsa_system_sgpr_workgroup_id_z 1
		.amdhsa_system_sgpr_workgroup_info 0
		.amdhsa_system_vgpr_workitem_id 2
		.amdhsa_next_free_vgpr 28
		.amdhsa_next_free_sgpr 32
		.amdhsa_named_barrier_count 0
		.amdhsa_reserve_vcc 1
		.amdhsa_float_round_mode_32 0
		.amdhsa_float_round_mode_16_64 0
		.amdhsa_float_denorm_mode_32 3
		.amdhsa_float_denorm_mode_16_64 3
		.amdhsa_fp16_overflow 0
		.amdhsa_memory_ordered 1
		.amdhsa_forward_progress 1
		.amdhsa_inst_pref_size 11
		.amdhsa_round_robin_scheduling 0
		.amdhsa_exception_fp_ieee_invalid_op 0
		.amdhsa_exception_fp_denorm_src 0
		.amdhsa_exception_fp_ieee_div_zero 0
		.amdhsa_exception_fp_ieee_overflow 0
		.amdhsa_exception_fp_ieee_underflow 0
		.amdhsa_exception_fp_ieee_inexact 0
		.amdhsa_exception_int_div_zero 0
	.end_amdhsa_kernel
	.section	.text._ZL20rocblas_gbmvt_kernelILi64ELi16E24rocblas_internal_val_ptrIfEPKPKfPKPfEvb18rocblas_operation_iiiiT1_T2_lllSB_lllSA_T3_llli,"axG",@progbits,_ZL20rocblas_gbmvt_kernelILi64ELi16E24rocblas_internal_val_ptrIfEPKPKfPKPfEvb18rocblas_operation_iiiiT1_T2_lllSB_lllSA_T3_llli,comdat
.Lfunc_end31:
	.size	_ZL20rocblas_gbmvt_kernelILi64ELi16E24rocblas_internal_val_ptrIfEPKPKfPKPfEvb18rocblas_operation_iiiiT1_T2_lllSB_lllSA_T3_llli, .Lfunc_end31-_ZL20rocblas_gbmvt_kernelILi64ELi16E24rocblas_internal_val_ptrIfEPKPKfPKPfEvb18rocblas_operation_iiiiT1_T2_lllSB_lllSA_T3_llli
                                        ; -- End function
	.set _ZL20rocblas_gbmvt_kernelILi64ELi16E24rocblas_internal_val_ptrIfEPKPKfPKPfEvb18rocblas_operation_iiiiT1_T2_lllSB_lllSA_T3_llli.num_vgpr, 28
	.set _ZL20rocblas_gbmvt_kernelILi64ELi16E24rocblas_internal_val_ptrIfEPKPKfPKPfEvb18rocblas_operation_iiiiT1_T2_lllSB_lllSA_T3_llli.num_agpr, 0
	.set _ZL20rocblas_gbmvt_kernelILi64ELi16E24rocblas_internal_val_ptrIfEPKPKfPKPfEvb18rocblas_operation_iiiiT1_T2_lllSB_lllSA_T3_llli.numbered_sgpr, 32
	.set _ZL20rocblas_gbmvt_kernelILi64ELi16E24rocblas_internal_val_ptrIfEPKPKfPKPfEvb18rocblas_operation_iiiiT1_T2_lllSB_lllSA_T3_llli.num_named_barrier, 0
	.set _ZL20rocblas_gbmvt_kernelILi64ELi16E24rocblas_internal_val_ptrIfEPKPKfPKPfEvb18rocblas_operation_iiiiT1_T2_lllSB_lllSA_T3_llli.private_seg_size, 0
	.set _ZL20rocblas_gbmvt_kernelILi64ELi16E24rocblas_internal_val_ptrIfEPKPKfPKPfEvb18rocblas_operation_iiiiT1_T2_lllSB_lllSA_T3_llli.uses_vcc, 1
	.set _ZL20rocblas_gbmvt_kernelILi64ELi16E24rocblas_internal_val_ptrIfEPKPKfPKPfEvb18rocblas_operation_iiiiT1_T2_lllSB_lllSA_T3_llli.uses_flat_scratch, 0
	.set _ZL20rocblas_gbmvt_kernelILi64ELi16E24rocblas_internal_val_ptrIfEPKPKfPKPfEvb18rocblas_operation_iiiiT1_T2_lllSB_lllSA_T3_llli.has_dyn_sized_stack, 0
	.set _ZL20rocblas_gbmvt_kernelILi64ELi16E24rocblas_internal_val_ptrIfEPKPKfPKPfEvb18rocblas_operation_iiiiT1_T2_lllSB_lllSA_T3_llli.has_recursion, 0
	.set _ZL20rocblas_gbmvt_kernelILi64ELi16E24rocblas_internal_val_ptrIfEPKPKfPKPfEvb18rocblas_operation_iiiiT1_T2_lllSB_lllSA_T3_llli.has_indirect_call, 0
	.section	.AMDGPU.csdata,"",@progbits
; Kernel info:
; codeLenInByte = 1328
; TotalNumSgprs: 34
; NumVgprs: 28
; ScratchSize: 0
; MemoryBound: 0
; FloatMode: 240
; IeeeMode: 1
; LDSByteSize: 16384 bytes/workgroup (compile time only)
; SGPRBlocks: 0
; VGPRBlocks: 1
; NumSGPRsForWavesPerEU: 34
; NumVGPRsForWavesPerEU: 28
; NamedBarCnt: 0
; Occupancy: 16
; WaveLimiterHint : 1
; COMPUTE_PGM_RSRC2:SCRATCH_EN: 0
; COMPUTE_PGM_RSRC2:USER_SGPR: 4
; COMPUTE_PGM_RSRC2:TRAP_HANDLER: 0
; COMPUTE_PGM_RSRC2:TGID_X_EN: 1
; COMPUTE_PGM_RSRC2:TGID_Y_EN: 0
; COMPUTE_PGM_RSRC2:TGID_Z_EN: 1
; COMPUTE_PGM_RSRC2:TIDIG_COMP_CNT: 2
	.section	.AMDGPU.gpr_maximums,"",@progbits
	.set amdgpu.max_num_vgpr, 0
	.set amdgpu.max_num_agpr, 0
	.set amdgpu.max_num_sgpr, 0
	.section	.AMDGPU.csdata,"",@progbits
	.type	__hip_cuid_df56d4f2037107fa,@object ; @__hip_cuid_df56d4f2037107fa
	.section	.bss,"aw",@nobits
	.globl	__hip_cuid_df56d4f2037107fa
__hip_cuid_df56d4f2037107fa:
	.byte	0                               ; 0x0
	.size	__hip_cuid_df56d4f2037107fa, 1

	.ident	"AMD clang version 22.0.0git (https://github.com/RadeonOpenCompute/llvm-project roc-7.2.4 26084 f58b06dce1f9c15707c5f808fd002e18c2accf7e)"
	.section	".note.GNU-stack","",@progbits
	.addrsig
	.addrsig_sym __hip_cuid_df56d4f2037107fa
	.amdgpu_metadata
---
amdhsa.kernels:
  - .args:
      - .offset:         0
        .size:           1
        .value_kind:     by_value
      - .offset:         4
        .size:           4
        .value_kind:     by_value
      - .offset:         8
        .size:           4
        .value_kind:     by_value
      - .offset:         12
        .size:           4
        .value_kind:     by_value
      - .offset:         16
        .size:           4
        .value_kind:     by_value
      - .offset:         24
        .size:           8
        .value_kind:     by_value
      - .address_space:  global
        .offset:         32
        .size:           8
        .value_kind:     global_buffer
      - .offset:         40
        .size:           8
        .value_kind:     by_value
      - .offset:         48
        .size:           8
        .value_kind:     by_value
      - .offset:         56
        .size:           8
        .value_kind:     by_value
      - .address_space:  global
        .offset:         64
        .size:           8
        .value_kind:     global_buffer
      - .offset:         72
        .size:           8
        .value_kind:     by_value
      - .offset:         80
        .size:           8
        .value_kind:     by_value
      - .offset:         88
        .size:           8
        .value_kind:     by_value
      - .offset:         96
        .size:           8
        .value_kind:     by_value
      - .address_space:  global
        .offset:         104
        .size:           8
        .value_kind:     global_buffer
      - .offset:         112
        .size:           8
        .value_kind:     by_value
      - .offset:         120
        .size:           8
        .value_kind:     by_value
      - .offset:         128
        .size:           8
        .value_kind:     by_value
      - .offset:         136
        .size:           4
        .value_kind:     by_value
    .group_segment_fixed_size: 16384
    .kernarg_segment_align: 8
    .kernarg_segment_size: 140
    .language:       OpenCL C
    .language_version:
      - 2
      - 0
    .max_flat_workgroup_size: 1024
    .name:           _ZL20rocblas_gbmvn_kernelILi32ELi32E24rocblas_internal_val_ptrIdEPKPKdPKPdEvbiiiiT1_T2_lllSA_lllS9_T3_llli
    .private_segment_fixed_size: 0
    .sgpr_count:     36
    .sgpr_spill_count: 0
    .symbol:         _ZL20rocblas_gbmvn_kernelILi32ELi32E24rocblas_internal_val_ptrIdEPKPKdPKPdEvbiiiiT1_T2_lllSA_lllS9_T3_llli.kd
    .uniform_work_group_size: 1
    .uses_dynamic_stack: false
    .vgpr_count:     30
    .vgpr_spill_count: 0
    .wavefront_size: 32
  - .args:
      - .offset:         0
        .size:           1
        .value_kind:     by_value
      - .offset:         4
        .size:           4
        .value_kind:     by_value
      - .offset:         8
        .size:           4
        .value_kind:     by_value
      - .offset:         12
        .size:           4
        .value_kind:     by_value
      - .offset:         16
        .size:           4
        .value_kind:     by_value
      - .offset:         24
        .size:           8
        .value_kind:     by_value
      - .address_space:  global
        .offset:         32
        .size:           8
        .value_kind:     global_buffer
      - .offset:         40
        .size:           8
        .value_kind:     by_value
      - .offset:         48
        .size:           8
        .value_kind:     by_value
      - .offset:         56
        .size:           8
        .value_kind:     by_value
      - .address_space:  global
        .offset:         64
        .size:           8
        .value_kind:     global_buffer
      - .offset:         72
        .size:           8
        .value_kind:     by_value
      - .offset:         80
        .size:           8
        .value_kind:     by_value
      - .offset:         88
        .size:           8
        .value_kind:     by_value
      - .offset:         96
        .size:           8
        .value_kind:     by_value
      - .address_space:  global
        .offset:         104
        .size:           8
        .value_kind:     global_buffer
      - .offset:         112
        .size:           8
        .value_kind:     by_value
      - .offset:         120
        .size:           8
        .value_kind:     by_value
      - .offset:         128
        .size:           8
        .value_kind:     by_value
      - .offset:         136
        .size:           4
        .value_kind:     by_value
    .group_segment_fixed_size: 16384
    .kernarg_segment_align: 8
    .kernarg_segment_size: 140
    .language:       OpenCL C
    .language_version:
      - 2
      - 0
    .max_flat_workgroup_size: 1024
    .name:           _ZL20rocblas_gbmvn_kernelILi64ELi16E24rocblas_internal_val_ptrIdEPKPKdPKPdEvbiiiiT1_T2_lllSA_lllS9_T3_llli
    .private_segment_fixed_size: 0
    .sgpr_count:     36
    .sgpr_spill_count: 0
    .symbol:         _ZL20rocblas_gbmvn_kernelILi64ELi16E24rocblas_internal_val_ptrIdEPKPKdPKPdEvbiiiiT1_T2_lllSA_lllS9_T3_llli.kd
    .uniform_work_group_size: 1
    .uses_dynamic_stack: false
    .vgpr_count:     32
    .vgpr_spill_count: 0
    .wavefront_size: 32
  - .args:
      - .offset:         0
        .size:           1
        .value_kind:     by_value
      - .offset:         4
        .size:           4
        .value_kind:     by_value
      - .offset:         8
        .size:           4
        .value_kind:     by_value
      - .offset:         12
        .size:           4
        .value_kind:     by_value
      - .offset:         16
        .size:           4
        .value_kind:     by_value
      - .offset:         20
        .size:           4
        .value_kind:     by_value
      - .offset:         24
        .size:           8
        .value_kind:     by_value
      - .address_space:  global
        .offset:         32
        .size:           8
        .value_kind:     global_buffer
      - .offset:         40
        .size:           8
        .value_kind:     by_value
      - .offset:         48
        .size:           8
        .value_kind:     by_value
      - .offset:         56
        .size:           8
        .value_kind:     by_value
      - .address_space:  global
        .offset:         64
        .size:           8
        .value_kind:     global_buffer
      - .offset:         72
        .size:           8
        .value_kind:     by_value
      - .offset:         80
        .size:           8
        .value_kind:     by_value
      - .offset:         88
        .size:           8
        .value_kind:     by_value
      - .offset:         96
        .size:           8
        .value_kind:     by_value
      - .address_space:  global
        .offset:         104
        .size:           8
        .value_kind:     global_buffer
      - .offset:         112
        .size:           8
        .value_kind:     by_value
      - .offset:         120
        .size:           8
        .value_kind:     by_value
      - .offset:         128
        .size:           8
        .value_kind:     by_value
      - .offset:         136
        .size:           4
        .value_kind:     by_value
    .group_segment_fixed_size: 16384
    .kernarg_segment_align: 8
    .kernarg_segment_size: 140
    .language:       OpenCL C
    .language_version:
      - 2
      - 0
    .max_flat_workgroup_size: 1024
    .name:           _ZL20rocblas_gbmvt_kernelILi32ELi32E24rocblas_internal_val_ptrIdEPKPKdPKPdEvb18rocblas_operation_iiiiT1_T2_lllSB_lllSA_T3_llli
    .private_segment_fixed_size: 0
    .sgpr_count:     34
    .sgpr_spill_count: 0
    .symbol:         _ZL20rocblas_gbmvt_kernelILi32ELi32E24rocblas_internal_val_ptrIdEPKPKdPKPdEvb18rocblas_operation_iiiiT1_T2_lllSB_lllSA_T3_llli.kd
    .uniform_work_group_size: 1
    .uses_dynamic_stack: false
    .vgpr_count:     32
    .vgpr_spill_count: 0
    .wavefront_size: 32
  - .args:
      - .offset:         0
        .size:           1
        .value_kind:     by_value
      - .offset:         4
        .size:           4
        .value_kind:     by_value
      - .offset:         8
        .size:           4
        .value_kind:     by_value
      - .offset:         12
        .size:           4
        .value_kind:     by_value
      - .offset:         16
        .size:           4
        .value_kind:     by_value
      - .offset:         20
        .size:           4
        .value_kind:     by_value
      - .offset:         24
        .size:           8
        .value_kind:     by_value
      - .address_space:  global
        .offset:         32
        .size:           8
        .value_kind:     global_buffer
      - .offset:         40
        .size:           8
        .value_kind:     by_value
      - .offset:         48
        .size:           8
        .value_kind:     by_value
      - .offset:         56
        .size:           8
        .value_kind:     by_value
      - .address_space:  global
        .offset:         64
        .size:           8
        .value_kind:     global_buffer
      - .offset:         72
        .size:           8
        .value_kind:     by_value
      - .offset:         80
        .size:           8
        .value_kind:     by_value
      - .offset:         88
        .size:           8
        .value_kind:     by_value
      - .offset:         96
        .size:           8
        .value_kind:     by_value
      - .address_space:  global
        .offset:         104
        .size:           8
        .value_kind:     global_buffer
      - .offset:         112
        .size:           8
        .value_kind:     by_value
      - .offset:         120
        .size:           8
        .value_kind:     by_value
      - .offset:         128
        .size:           8
        .value_kind:     by_value
      - .offset:         136
        .size:           4
        .value_kind:     by_value
    .group_segment_fixed_size: 16384
    .kernarg_segment_align: 8
    .kernarg_segment_size: 140
    .language:       OpenCL C
    .language_version:
      - 2
      - 0
    .max_flat_workgroup_size: 1024
    .name:           _ZL20rocblas_gbmvt_kernelILi64ELi16E24rocblas_internal_val_ptrIdEPKPKdPKPdEvb18rocblas_operation_iiiiT1_T2_lllSB_lllSA_T3_llli
    .private_segment_fixed_size: 0
    .sgpr_count:     34
    .sgpr_spill_count: 0
    .symbol:         _ZL20rocblas_gbmvt_kernelILi64ELi16E24rocblas_internal_val_ptrIdEPKPKdPKPdEvb18rocblas_operation_iiiiT1_T2_lllSB_lllSA_T3_llli.kd
    .uniform_work_group_size: 1
    .uses_dynamic_stack: false
    .vgpr_count:     34
    .vgpr_spill_count: 0
    .wavefront_size: 32
  - .args:
      - .offset:         0
        .size:           1
        .value_kind:     by_value
      - .offset:         4
        .size:           4
        .value_kind:     by_value
      - .offset:         8
        .size:           4
        .value_kind:     by_value
      - .offset:         12
        .size:           4
        .value_kind:     by_value
      - .offset:         16
        .size:           4
        .value_kind:     by_value
      - .offset:         24
        .size:           8
        .value_kind:     by_value
      - .address_space:  global
        .offset:         32
        .size:           8
        .value_kind:     global_buffer
      - .offset:         40
        .size:           8
        .value_kind:     by_value
      - .offset:         48
        .size:           8
        .value_kind:     by_value
      - .offset:         56
        .size:           8
        .value_kind:     by_value
      - .address_space:  global
        .offset:         64
        .size:           8
        .value_kind:     global_buffer
      - .offset:         72
        .size:           8
        .value_kind:     by_value
      - .offset:         80
        .size:           8
        .value_kind:     by_value
      - .offset:         88
        .size:           8
        .value_kind:     by_value
      - .offset:         96
        .size:           8
        .value_kind:     by_value
      - .address_space:  global
        .offset:         104
        .size:           8
        .value_kind:     global_buffer
      - .offset:         112
        .size:           8
        .value_kind:     by_value
      - .offset:         120
        .size:           8
        .value_kind:     by_value
      - .offset:         128
        .size:           8
        .value_kind:     by_value
      - .offset:         136
        .size:           4
        .value_kind:     by_value
    .group_segment_fixed_size: 0
    .kernarg_segment_align: 8
    .kernarg_segment_size: 140
    .language:       OpenCL C
    .language_version:
      - 2
      - 0
    .max_flat_workgroup_size: 1024
    .name:           _ZL20rocblas_gbmvn_kernelILi32ELi32E24rocblas_internal_val_ptrI19rocblas_complex_numIfEEPKPKS2_PKPS2_EvbiiiiT1_T2_lllSC_lllSB_T3_llli
    .private_segment_fixed_size: 0
    .sgpr_count:     39
    .sgpr_spill_count: 0
    .symbol:         _ZL20rocblas_gbmvn_kernelILi32ELi32E24rocblas_internal_val_ptrI19rocblas_complex_numIfEEPKPKS2_PKPS2_EvbiiiiT1_T2_lllSC_lllSB_T3_llli.kd
    .uniform_work_group_size: 1
    .uses_dynamic_stack: false
    .vgpr_count:     26
    .vgpr_spill_count: 0
    .wavefront_size: 32
  - .args:
      - .offset:         0
        .size:           1
        .value_kind:     by_value
      - .offset:         4
        .size:           4
        .value_kind:     by_value
      - .offset:         8
        .size:           4
        .value_kind:     by_value
      - .offset:         12
        .size:           4
        .value_kind:     by_value
      - .offset:         16
        .size:           4
        .value_kind:     by_value
      - .offset:         24
        .size:           8
        .value_kind:     by_value
      - .address_space:  global
        .offset:         32
        .size:           8
        .value_kind:     global_buffer
      - .offset:         40
        .size:           8
        .value_kind:     by_value
      - .offset:         48
        .size:           8
        .value_kind:     by_value
      - .offset:         56
        .size:           8
        .value_kind:     by_value
      - .address_space:  global
        .offset:         64
        .size:           8
        .value_kind:     global_buffer
      - .offset:         72
        .size:           8
        .value_kind:     by_value
      - .offset:         80
        .size:           8
        .value_kind:     by_value
      - .offset:         88
        .size:           8
        .value_kind:     by_value
      - .offset:         96
        .size:           8
        .value_kind:     by_value
      - .address_space:  global
        .offset:         104
        .size:           8
        .value_kind:     global_buffer
      - .offset:         112
        .size:           8
        .value_kind:     by_value
      - .offset:         120
        .size:           8
        .value_kind:     by_value
      - .offset:         128
        .size:           8
        .value_kind:     by_value
      - .offset:         136
        .size:           4
        .value_kind:     by_value
    .group_segment_fixed_size: 0
    .kernarg_segment_align: 8
    .kernarg_segment_size: 140
    .language:       OpenCL C
    .language_version:
      - 2
      - 0
    .max_flat_workgroup_size: 1024
    .name:           _ZL20rocblas_gbmvn_kernelILi64ELi16E24rocblas_internal_val_ptrI19rocblas_complex_numIfEEPKPKS2_PKPS2_EvbiiiiT1_T2_lllSC_lllSB_T3_llli
    .private_segment_fixed_size: 0
    .sgpr_count:     39
    .sgpr_spill_count: 0
    .symbol:         _ZL20rocblas_gbmvn_kernelILi64ELi16E24rocblas_internal_val_ptrI19rocblas_complex_numIfEEPKPKS2_PKPS2_EvbiiiiT1_T2_lllSC_lllSB_T3_llli.kd
    .uniform_work_group_size: 1
    .uses_dynamic_stack: false
    .vgpr_count:     27
    .vgpr_spill_count: 0
    .wavefront_size: 32
  - .args:
      - .offset:         0
        .size:           1
        .value_kind:     by_value
      - .offset:         4
        .size:           4
        .value_kind:     by_value
      - .offset:         8
        .size:           4
        .value_kind:     by_value
      - .offset:         12
        .size:           4
        .value_kind:     by_value
      - .offset:         16
        .size:           4
        .value_kind:     by_value
      - .offset:         20
        .size:           4
        .value_kind:     by_value
      - .offset:         24
        .size:           8
        .value_kind:     by_value
      - .address_space:  global
        .offset:         32
        .size:           8
        .value_kind:     global_buffer
      - .offset:         40
        .size:           8
        .value_kind:     by_value
      - .offset:         48
        .size:           8
        .value_kind:     by_value
      - .offset:         56
        .size:           8
        .value_kind:     by_value
      - .address_space:  global
        .offset:         64
        .size:           8
        .value_kind:     global_buffer
      - .offset:         72
        .size:           8
        .value_kind:     by_value
      - .offset:         80
        .size:           8
        .value_kind:     by_value
      - .offset:         88
        .size:           8
        .value_kind:     by_value
      - .offset:         96
        .size:           8
        .value_kind:     by_value
      - .address_space:  global
        .offset:         104
        .size:           8
        .value_kind:     global_buffer
      - .offset:         112
        .size:           8
        .value_kind:     by_value
      - .offset:         120
        .size:           8
        .value_kind:     by_value
      - .offset:         128
        .size:           8
        .value_kind:     by_value
      - .offset:         136
        .size:           4
        .value_kind:     by_value
    .group_segment_fixed_size: 0
    .kernarg_segment_align: 8
    .kernarg_segment_size: 140
    .language:       OpenCL C
    .language_version:
      - 2
      - 0
    .max_flat_workgroup_size: 1024
    .name:           _ZL20rocblas_gbmvt_kernelILi32ELi32E24rocblas_internal_val_ptrI19rocblas_complex_numIfEEPKPKS2_PKPS2_Evb18rocblas_operation_iiiiT1_T2_lllSD_lllSC_T3_llli
    .private_segment_fixed_size: 0
    .sgpr_count:     42
    .sgpr_spill_count: 0
    .symbol:         _ZL20rocblas_gbmvt_kernelILi32ELi32E24rocblas_internal_val_ptrI19rocblas_complex_numIfEEPKPKS2_PKPS2_Evb18rocblas_operation_iiiiT1_T2_lllSD_lllSC_T3_llli.kd
    .uniform_work_group_size: 1
    .uses_dynamic_stack: false
    .vgpr_count:     26
    .vgpr_spill_count: 0
    .wavefront_size: 32
  - .args:
      - .offset:         0
        .size:           1
        .value_kind:     by_value
      - .offset:         4
        .size:           4
        .value_kind:     by_value
      - .offset:         8
        .size:           4
        .value_kind:     by_value
      - .offset:         12
        .size:           4
        .value_kind:     by_value
      - .offset:         16
        .size:           4
        .value_kind:     by_value
      - .offset:         20
        .size:           4
        .value_kind:     by_value
      - .offset:         24
        .size:           8
        .value_kind:     by_value
      - .address_space:  global
        .offset:         32
        .size:           8
        .value_kind:     global_buffer
      - .offset:         40
        .size:           8
        .value_kind:     by_value
      - .offset:         48
        .size:           8
        .value_kind:     by_value
      - .offset:         56
        .size:           8
        .value_kind:     by_value
      - .address_space:  global
        .offset:         64
        .size:           8
        .value_kind:     global_buffer
      - .offset:         72
        .size:           8
        .value_kind:     by_value
      - .offset:         80
        .size:           8
        .value_kind:     by_value
      - .offset:         88
        .size:           8
        .value_kind:     by_value
      - .offset:         96
        .size:           8
        .value_kind:     by_value
      - .address_space:  global
        .offset:         104
        .size:           8
        .value_kind:     global_buffer
      - .offset:         112
        .size:           8
        .value_kind:     by_value
      - .offset:         120
        .size:           8
        .value_kind:     by_value
      - .offset:         128
        .size:           8
        .value_kind:     by_value
      - .offset:         136
        .size:           4
        .value_kind:     by_value
    .group_segment_fixed_size: 0
    .kernarg_segment_align: 8
    .kernarg_segment_size: 140
    .language:       OpenCL C
    .language_version:
      - 2
      - 0
    .max_flat_workgroup_size: 1024
    .name:           _ZL20rocblas_gbmvt_kernelILi64ELi16E24rocblas_internal_val_ptrI19rocblas_complex_numIfEEPKPKS2_PKPS2_Evb18rocblas_operation_iiiiT1_T2_lllSD_lllSC_T3_llli
    .private_segment_fixed_size: 0
    .sgpr_count:     42
    .sgpr_spill_count: 0
    .symbol:         _ZL20rocblas_gbmvt_kernelILi64ELi16E24rocblas_internal_val_ptrI19rocblas_complex_numIfEEPKPKS2_PKPS2_Evb18rocblas_operation_iiiiT1_T2_lllSD_lllSC_T3_llli.kd
    .uniform_work_group_size: 1
    .uses_dynamic_stack: false
    .vgpr_count:     26
    .vgpr_spill_count: 0
    .wavefront_size: 32
  - .args:
      - .offset:         0
        .size:           1
        .value_kind:     by_value
      - .offset:         4
        .size:           4
        .value_kind:     by_value
      - .offset:         8
        .size:           4
        .value_kind:     by_value
      - .offset:         12
        .size:           4
        .value_kind:     by_value
      - .offset:         16
        .size:           4
        .value_kind:     by_value
      - .offset:         24
        .size:           16
        .value_kind:     by_value
      - .address_space:  global
        .offset:         40
        .size:           8
        .value_kind:     global_buffer
      - .offset:         48
        .size:           8
        .value_kind:     by_value
      - .offset:         56
        .size:           8
        .value_kind:     by_value
      - .offset:         64
        .size:           8
        .value_kind:     by_value
      - .address_space:  global
        .offset:         72
        .size:           8
        .value_kind:     global_buffer
      - .offset:         80
        .size:           8
        .value_kind:     by_value
      - .offset:         88
        .size:           8
        .value_kind:     by_value
      - .offset:         96
        .size:           8
        .value_kind:     by_value
      - .offset:         104
        .size:           16
        .value_kind:     by_value
      - .address_space:  global
        .offset:         120
        .size:           8
        .value_kind:     global_buffer
      - .offset:         128
        .size:           8
        .value_kind:     by_value
      - .offset:         136
        .size:           8
        .value_kind:     by_value
      - .offset:         144
        .size:           8
        .value_kind:     by_value
      - .offset:         152
        .size:           4
        .value_kind:     by_value
    .group_segment_fixed_size: 0
    .kernarg_segment_align: 8
    .kernarg_segment_size: 156
    .language:       OpenCL C
    .language_version:
      - 2
      - 0
    .max_flat_workgroup_size: 1024
    .name:           _ZL20rocblas_gbmvn_kernelILi32ELi32E24rocblas_internal_val_ptrI19rocblas_complex_numIdEEPKPKS2_PKPS2_EvbiiiiT1_T2_lllSC_lllSB_T3_llli
    .private_segment_fixed_size: 0
    .sgpr_count:     42
    .sgpr_spill_count: 0
    .symbol:         _ZL20rocblas_gbmvn_kernelILi32ELi32E24rocblas_internal_val_ptrI19rocblas_complex_numIdEEPKPKS2_PKPS2_EvbiiiiT1_T2_lllSC_lllSB_T3_llli.kd
    .uniform_work_group_size: 1
    .uses_dynamic_stack: false
    .vgpr_count:     40
    .vgpr_spill_count: 0
    .wavefront_size: 32
  - .args:
      - .offset:         0
        .size:           1
        .value_kind:     by_value
      - .offset:         4
        .size:           4
        .value_kind:     by_value
      - .offset:         8
        .size:           4
        .value_kind:     by_value
      - .offset:         12
        .size:           4
        .value_kind:     by_value
      - .offset:         16
        .size:           4
        .value_kind:     by_value
      - .offset:         24
        .size:           16
        .value_kind:     by_value
      - .address_space:  global
        .offset:         40
        .size:           8
        .value_kind:     global_buffer
      - .offset:         48
        .size:           8
        .value_kind:     by_value
      - .offset:         56
        .size:           8
        .value_kind:     by_value
      - .offset:         64
        .size:           8
        .value_kind:     by_value
      - .address_space:  global
        .offset:         72
        .size:           8
        .value_kind:     global_buffer
      - .offset:         80
        .size:           8
        .value_kind:     by_value
      - .offset:         88
        .size:           8
        .value_kind:     by_value
      - .offset:         96
        .size:           8
        .value_kind:     by_value
      - .offset:         104
        .size:           16
        .value_kind:     by_value
      - .address_space:  global
        .offset:         120
        .size:           8
        .value_kind:     global_buffer
      - .offset:         128
        .size:           8
        .value_kind:     by_value
      - .offset:         136
        .size:           8
        .value_kind:     by_value
      - .offset:         144
        .size:           8
        .value_kind:     by_value
      - .offset:         152
        .size:           4
        .value_kind:     by_value
    .group_segment_fixed_size: 0
    .kernarg_segment_align: 8
    .kernarg_segment_size: 156
    .language:       OpenCL C
    .language_version:
      - 2
      - 0
    .max_flat_workgroup_size: 1024
    .name:           _ZL20rocblas_gbmvn_kernelILi64ELi16E24rocblas_internal_val_ptrI19rocblas_complex_numIdEEPKPKS2_PKPS2_EvbiiiiT1_T2_lllSC_lllSB_T3_llli
    .private_segment_fixed_size: 0
    .sgpr_count:     42
    .sgpr_spill_count: 0
    .symbol:         _ZL20rocblas_gbmvn_kernelILi64ELi16E24rocblas_internal_val_ptrI19rocblas_complex_numIdEEPKPKS2_PKPS2_EvbiiiiT1_T2_lllSC_lllSB_T3_llli.kd
    .uniform_work_group_size: 1
    .uses_dynamic_stack: false
    .vgpr_count:     40
    .vgpr_spill_count: 0
    .wavefront_size: 32
  - .args:
      - .offset:         0
        .size:           1
        .value_kind:     by_value
      - .offset:         4
        .size:           4
        .value_kind:     by_value
      - .offset:         8
        .size:           4
        .value_kind:     by_value
      - .offset:         12
        .size:           4
        .value_kind:     by_value
      - .offset:         16
        .size:           4
        .value_kind:     by_value
      - .offset:         20
        .size:           4
        .value_kind:     by_value
      - .offset:         24
        .size:           16
        .value_kind:     by_value
      - .address_space:  global
        .offset:         40
        .size:           8
        .value_kind:     global_buffer
      - .offset:         48
        .size:           8
        .value_kind:     by_value
      - .offset:         56
        .size:           8
        .value_kind:     by_value
      - .offset:         64
        .size:           8
        .value_kind:     by_value
      - .address_space:  global
        .offset:         72
        .size:           8
        .value_kind:     global_buffer
      - .offset:         80
        .size:           8
        .value_kind:     by_value
      - .offset:         88
        .size:           8
        .value_kind:     by_value
      - .offset:         96
        .size:           8
        .value_kind:     by_value
      - .offset:         104
        .size:           16
        .value_kind:     by_value
      - .address_space:  global
        .offset:         120
        .size:           8
        .value_kind:     global_buffer
      - .offset:         128
        .size:           8
        .value_kind:     by_value
      - .offset:         136
        .size:           8
        .value_kind:     by_value
      - .offset:         144
        .size:           8
        .value_kind:     by_value
      - .offset:         152
        .size:           4
        .value_kind:     by_value
    .group_segment_fixed_size: 0
    .kernarg_segment_align: 8
    .kernarg_segment_size: 156
    .language:       OpenCL C
    .language_version:
      - 2
      - 0
    .max_flat_workgroup_size: 1024
    .name:           _ZL20rocblas_gbmvt_kernelILi32ELi32E24rocblas_internal_val_ptrI19rocblas_complex_numIdEEPKPKS2_PKPS2_Evb18rocblas_operation_iiiiT1_T2_lllSD_lllSC_T3_llli
    .private_segment_fixed_size: 0
    .sgpr_count:     42
    .sgpr_spill_count: 0
    .symbol:         _ZL20rocblas_gbmvt_kernelILi32ELi32E24rocblas_internal_val_ptrI19rocblas_complex_numIdEEPKPKS2_PKPS2_Evb18rocblas_operation_iiiiT1_T2_lllSD_lllSC_T3_llli.kd
    .uniform_work_group_size: 1
    .uses_dynamic_stack: false
    .vgpr_count:     42
    .vgpr_spill_count: 0
    .wavefront_size: 32
  - .args:
      - .offset:         0
        .size:           1
        .value_kind:     by_value
      - .offset:         4
        .size:           4
        .value_kind:     by_value
      - .offset:         8
        .size:           4
        .value_kind:     by_value
      - .offset:         12
        .size:           4
        .value_kind:     by_value
      - .offset:         16
        .size:           4
        .value_kind:     by_value
      - .offset:         20
        .size:           4
        .value_kind:     by_value
      - .offset:         24
        .size:           16
        .value_kind:     by_value
      - .address_space:  global
        .offset:         40
        .size:           8
        .value_kind:     global_buffer
      - .offset:         48
        .size:           8
        .value_kind:     by_value
      - .offset:         56
        .size:           8
        .value_kind:     by_value
      - .offset:         64
        .size:           8
        .value_kind:     by_value
      - .address_space:  global
        .offset:         72
        .size:           8
        .value_kind:     global_buffer
      - .offset:         80
        .size:           8
        .value_kind:     by_value
      - .offset:         88
        .size:           8
        .value_kind:     by_value
      - .offset:         96
        .size:           8
        .value_kind:     by_value
      - .offset:         104
        .size:           16
        .value_kind:     by_value
      - .address_space:  global
        .offset:         120
        .size:           8
        .value_kind:     global_buffer
      - .offset:         128
        .size:           8
        .value_kind:     by_value
      - .offset:         136
        .size:           8
        .value_kind:     by_value
      - .offset:         144
        .size:           8
        .value_kind:     by_value
      - .offset:         152
        .size:           4
        .value_kind:     by_value
    .group_segment_fixed_size: 0
    .kernarg_segment_align: 8
    .kernarg_segment_size: 156
    .language:       OpenCL C
    .language_version:
      - 2
      - 0
    .max_flat_workgroup_size: 1024
    .name:           _ZL20rocblas_gbmvt_kernelILi64ELi16E24rocblas_internal_val_ptrI19rocblas_complex_numIdEEPKPKS2_PKPS2_Evb18rocblas_operation_iiiiT1_T2_lllSD_lllSC_T3_llli
    .private_segment_fixed_size: 0
    .sgpr_count:     42
    .sgpr_spill_count: 0
    .symbol:         _ZL20rocblas_gbmvt_kernelILi64ELi16E24rocblas_internal_val_ptrI19rocblas_complex_numIdEEPKPKS2_PKPS2_Evb18rocblas_operation_iiiiT1_T2_lllSD_lllSC_T3_llli.kd
    .uniform_work_group_size: 1
    .uses_dynamic_stack: false
    .vgpr_count:     42
    .vgpr_spill_count: 0
    .wavefront_size: 32
  - .args:
      - .offset:         0
        .size:           1
        .value_kind:     by_value
      - .offset:         4
        .size:           4
        .value_kind:     by_value
      - .offset:         8
        .size:           4
        .value_kind:     by_value
      - .offset:         12
        .size:           4
        .value_kind:     by_value
      - .offset:         16
        .size:           4
        .value_kind:     by_value
      - .offset:         24
        .size:           8
        .value_kind:     by_value
      - .address_space:  global
        .offset:         32
        .size:           8
        .value_kind:     global_buffer
      - .offset:         40
        .size:           8
        .value_kind:     by_value
      - .offset:         48
        .size:           8
        .value_kind:     by_value
      - .offset:         56
        .size:           8
        .value_kind:     by_value
      - .address_space:  global
        .offset:         64
        .size:           8
        .value_kind:     global_buffer
      - .offset:         72
        .size:           8
        .value_kind:     by_value
      - .offset:         80
        .size:           8
        .value_kind:     by_value
      - .offset:         88
        .size:           8
        .value_kind:     by_value
      - .offset:         96
        .size:           8
        .value_kind:     by_value
      - .address_space:  global
        .offset:         104
        .size:           8
        .value_kind:     global_buffer
      - .offset:         112
        .size:           8
        .value_kind:     by_value
      - .offset:         120
        .size:           8
        .value_kind:     by_value
      - .offset:         128
        .size:           8
        .value_kind:     by_value
      - .offset:         136
        .size:           4
        .value_kind:     by_value
    .group_segment_fixed_size: 16384
    .kernarg_segment_align: 8
    .kernarg_segment_size: 140
    .language:       OpenCL C
    .language_version:
      - 2
      - 0
    .max_flat_workgroup_size: 1024
    .name:           _ZL20rocblas_gbmvn_kernelILi32ELi32E24rocblas_internal_val_ptrIfEPKfPfEvbiiiiT1_T2_lllS6_lllS5_T3_llli
    .private_segment_fixed_size: 0
    .sgpr_count:     42
    .sgpr_spill_count: 0
    .symbol:         _ZL20rocblas_gbmvn_kernelILi32ELi32E24rocblas_internal_val_ptrIfEPKfPfEvbiiiiT1_T2_lllS6_lllS5_T3_llli.kd
    .uniform_work_group_size: 1
    .uses_dynamic_stack: false
    .vgpr_count:     22
    .vgpr_spill_count: 0
    .wavefront_size: 32
  - .args:
      - .offset:         0
        .size:           1
        .value_kind:     by_value
      - .offset:         4
        .size:           4
        .value_kind:     by_value
      - .offset:         8
        .size:           4
        .value_kind:     by_value
      - .offset:         12
        .size:           4
        .value_kind:     by_value
      - .offset:         16
        .size:           4
        .value_kind:     by_value
      - .offset:         24
        .size:           8
        .value_kind:     by_value
      - .address_space:  global
        .offset:         32
        .size:           8
        .value_kind:     global_buffer
      - .offset:         40
        .size:           8
        .value_kind:     by_value
      - .offset:         48
        .size:           8
        .value_kind:     by_value
      - .offset:         56
        .size:           8
        .value_kind:     by_value
      - .address_space:  global
        .offset:         64
        .size:           8
        .value_kind:     global_buffer
      - .offset:         72
        .size:           8
        .value_kind:     by_value
      - .offset:         80
        .size:           8
        .value_kind:     by_value
      - .offset:         88
        .size:           8
        .value_kind:     by_value
      - .offset:         96
        .size:           8
        .value_kind:     by_value
      - .address_space:  global
        .offset:         104
        .size:           8
        .value_kind:     global_buffer
      - .offset:         112
        .size:           8
        .value_kind:     by_value
      - .offset:         120
        .size:           8
        .value_kind:     by_value
      - .offset:         128
        .size:           8
        .value_kind:     by_value
      - .offset:         136
        .size:           4
        .value_kind:     by_value
    .group_segment_fixed_size: 16384
    .kernarg_segment_align: 8
    .kernarg_segment_size: 140
    .language:       OpenCL C
    .language_version:
      - 2
      - 0
    .max_flat_workgroup_size: 1024
    .name:           _ZL20rocblas_gbmvn_kernelILi64ELi16E24rocblas_internal_val_ptrIfEPKfPfEvbiiiiT1_T2_lllS6_lllS5_T3_llli
    .private_segment_fixed_size: 0
    .sgpr_count:     42
    .sgpr_spill_count: 0
    .symbol:         _ZL20rocblas_gbmvn_kernelILi64ELi16E24rocblas_internal_val_ptrIfEPKfPfEvbiiiiT1_T2_lllS6_lllS5_T3_llli.kd
    .uniform_work_group_size: 1
    .uses_dynamic_stack: false
    .vgpr_count:     23
    .vgpr_spill_count: 0
    .wavefront_size: 32
  - .args:
      - .offset:         0
        .size:           1
        .value_kind:     by_value
      - .offset:         4
        .size:           4
        .value_kind:     by_value
      - .offset:         8
        .size:           4
        .value_kind:     by_value
      - .offset:         12
        .size:           4
        .value_kind:     by_value
      - .offset:         16
        .size:           4
        .value_kind:     by_value
      - .offset:         20
        .size:           4
        .value_kind:     by_value
      - .offset:         24
        .size:           8
        .value_kind:     by_value
      - .address_space:  global
        .offset:         32
        .size:           8
        .value_kind:     global_buffer
      - .offset:         40
        .size:           8
        .value_kind:     by_value
      - .offset:         48
        .size:           8
        .value_kind:     by_value
      - .offset:         56
        .size:           8
        .value_kind:     by_value
      - .address_space:  global
        .offset:         64
        .size:           8
        .value_kind:     global_buffer
      - .offset:         72
        .size:           8
        .value_kind:     by_value
      - .offset:         80
        .size:           8
        .value_kind:     by_value
      - .offset:         88
        .size:           8
        .value_kind:     by_value
      - .offset:         96
        .size:           8
        .value_kind:     by_value
      - .address_space:  global
        .offset:         104
        .size:           8
        .value_kind:     global_buffer
      - .offset:         112
        .size:           8
        .value_kind:     by_value
      - .offset:         120
        .size:           8
        .value_kind:     by_value
      - .offset:         128
        .size:           8
        .value_kind:     by_value
      - .offset:         136
        .size:           4
        .value_kind:     by_value
    .group_segment_fixed_size: 16384
    .kernarg_segment_align: 8
    .kernarg_segment_size: 140
    .language:       OpenCL C
    .language_version:
      - 2
      - 0
    .max_flat_workgroup_size: 1024
    .name:           _ZL20rocblas_gbmvt_kernelILi32ELi32E24rocblas_internal_val_ptrIfEPKfPfEvb18rocblas_operation_iiiiT1_T2_lllS7_lllS6_T3_llli
    .private_segment_fixed_size: 0
    .sgpr_count:     42
    .sgpr_spill_count: 0
    .symbol:         _ZL20rocblas_gbmvt_kernelILi32ELi32E24rocblas_internal_val_ptrIfEPKfPfEvb18rocblas_operation_iiiiT1_T2_lllS7_lllS6_T3_llli.kd
    .uniform_work_group_size: 1
    .uses_dynamic_stack: false
    .vgpr_count:     24
    .vgpr_spill_count: 0
    .wavefront_size: 32
  - .args:
      - .offset:         0
        .size:           1
        .value_kind:     by_value
      - .offset:         4
        .size:           4
        .value_kind:     by_value
      - .offset:         8
        .size:           4
        .value_kind:     by_value
      - .offset:         12
        .size:           4
        .value_kind:     by_value
      - .offset:         16
        .size:           4
        .value_kind:     by_value
      - .offset:         20
        .size:           4
        .value_kind:     by_value
      - .offset:         24
        .size:           8
        .value_kind:     by_value
      - .address_space:  global
        .offset:         32
        .size:           8
        .value_kind:     global_buffer
      - .offset:         40
        .size:           8
        .value_kind:     by_value
      - .offset:         48
        .size:           8
        .value_kind:     by_value
      - .offset:         56
        .size:           8
        .value_kind:     by_value
      - .address_space:  global
        .offset:         64
        .size:           8
        .value_kind:     global_buffer
      - .offset:         72
        .size:           8
        .value_kind:     by_value
      - .offset:         80
        .size:           8
        .value_kind:     by_value
      - .offset:         88
        .size:           8
        .value_kind:     by_value
      - .offset:         96
        .size:           8
        .value_kind:     by_value
      - .address_space:  global
        .offset:         104
        .size:           8
        .value_kind:     global_buffer
      - .offset:         112
        .size:           8
        .value_kind:     by_value
      - .offset:         120
        .size:           8
        .value_kind:     by_value
      - .offset:         128
        .size:           8
        .value_kind:     by_value
      - .offset:         136
        .size:           4
        .value_kind:     by_value
    .group_segment_fixed_size: 16384
    .kernarg_segment_align: 8
    .kernarg_segment_size: 140
    .language:       OpenCL C
    .language_version:
      - 2
      - 0
    .max_flat_workgroup_size: 1024
    .name:           _ZL20rocblas_gbmvt_kernelILi64ELi16E24rocblas_internal_val_ptrIfEPKfPfEvb18rocblas_operation_iiiiT1_T2_lllS7_lllS6_T3_llli
    .private_segment_fixed_size: 0
    .sgpr_count:     42
    .sgpr_spill_count: 0
    .symbol:         _ZL20rocblas_gbmvt_kernelILi64ELi16E24rocblas_internal_val_ptrIfEPKfPfEvb18rocblas_operation_iiiiT1_T2_lllS7_lllS6_T3_llli.kd
    .uniform_work_group_size: 1
    .uses_dynamic_stack: false
    .vgpr_count:     25
    .vgpr_spill_count: 0
    .wavefront_size: 32
  - .args:
      - .offset:         0
        .size:           1
        .value_kind:     by_value
      - .offset:         4
        .size:           4
        .value_kind:     by_value
      - .offset:         8
        .size:           4
        .value_kind:     by_value
      - .offset:         12
        .size:           4
        .value_kind:     by_value
      - .offset:         16
        .size:           4
        .value_kind:     by_value
      - .offset:         24
        .size:           8
        .value_kind:     by_value
      - .address_space:  global
        .offset:         32
        .size:           8
        .value_kind:     global_buffer
      - .offset:         40
        .size:           8
        .value_kind:     by_value
      - .offset:         48
        .size:           8
        .value_kind:     by_value
      - .offset:         56
        .size:           8
        .value_kind:     by_value
      - .address_space:  global
        .offset:         64
        .size:           8
        .value_kind:     global_buffer
      - .offset:         72
        .size:           8
        .value_kind:     by_value
      - .offset:         80
        .size:           8
        .value_kind:     by_value
      - .offset:         88
        .size:           8
        .value_kind:     by_value
      - .offset:         96
        .size:           8
        .value_kind:     by_value
      - .address_space:  global
        .offset:         104
        .size:           8
        .value_kind:     global_buffer
      - .offset:         112
        .size:           8
        .value_kind:     by_value
      - .offset:         120
        .size:           8
        .value_kind:     by_value
      - .offset:         128
        .size:           8
        .value_kind:     by_value
      - .offset:         136
        .size:           4
        .value_kind:     by_value
    .group_segment_fixed_size: 16384
    .kernarg_segment_align: 8
    .kernarg_segment_size: 140
    .language:       OpenCL C
    .language_version:
      - 2
      - 0
    .max_flat_workgroup_size: 1024
    .name:           _ZL20rocblas_gbmvn_kernelILi32ELi32E24rocblas_internal_val_ptrIdEPKdPdEvbiiiiT1_T2_lllS6_lllS5_T3_llli
    .private_segment_fixed_size: 0
    .sgpr_count:     42
    .sgpr_spill_count: 0
    .symbol:         _ZL20rocblas_gbmvn_kernelILi32ELi32E24rocblas_internal_val_ptrIdEPKdPdEvbiiiiT1_T2_lllS6_lllS5_T3_llli.kd
    .uniform_work_group_size: 1
    .uses_dynamic_stack: false
    .vgpr_count:     28
    .vgpr_spill_count: 0
    .wavefront_size: 32
  - .args:
      - .offset:         0
        .size:           1
        .value_kind:     by_value
      - .offset:         4
        .size:           4
        .value_kind:     by_value
      - .offset:         8
        .size:           4
        .value_kind:     by_value
      - .offset:         12
        .size:           4
        .value_kind:     by_value
      - .offset:         16
        .size:           4
        .value_kind:     by_value
      - .offset:         24
        .size:           8
        .value_kind:     by_value
      - .address_space:  global
        .offset:         32
        .size:           8
        .value_kind:     global_buffer
      - .offset:         40
        .size:           8
        .value_kind:     by_value
      - .offset:         48
        .size:           8
        .value_kind:     by_value
      - .offset:         56
        .size:           8
        .value_kind:     by_value
      - .address_space:  global
        .offset:         64
        .size:           8
        .value_kind:     global_buffer
      - .offset:         72
        .size:           8
        .value_kind:     by_value
      - .offset:         80
        .size:           8
        .value_kind:     by_value
      - .offset:         88
        .size:           8
        .value_kind:     by_value
      - .offset:         96
        .size:           8
        .value_kind:     by_value
      - .address_space:  global
        .offset:         104
        .size:           8
        .value_kind:     global_buffer
      - .offset:         112
        .size:           8
        .value_kind:     by_value
      - .offset:         120
        .size:           8
        .value_kind:     by_value
      - .offset:         128
        .size:           8
        .value_kind:     by_value
      - .offset:         136
        .size:           4
        .value_kind:     by_value
    .group_segment_fixed_size: 16384
    .kernarg_segment_align: 8
    .kernarg_segment_size: 140
    .language:       OpenCL C
    .language_version:
      - 2
      - 0
    .max_flat_workgroup_size: 1024
    .name:           _ZL20rocblas_gbmvn_kernelILi64ELi16E24rocblas_internal_val_ptrIdEPKdPdEvbiiiiT1_T2_lllS6_lllS5_T3_llli
    .private_segment_fixed_size: 0
    .sgpr_count:     42
    .sgpr_spill_count: 0
    .symbol:         _ZL20rocblas_gbmvn_kernelILi64ELi16E24rocblas_internal_val_ptrIdEPKdPdEvbiiiiT1_T2_lllS6_lllS5_T3_llli.kd
    .uniform_work_group_size: 1
    .uses_dynamic_stack: false
    .vgpr_count:     28
    .vgpr_spill_count: 0
    .wavefront_size: 32
  - .args:
      - .offset:         0
        .size:           1
        .value_kind:     by_value
      - .offset:         4
        .size:           4
        .value_kind:     by_value
      - .offset:         8
        .size:           4
        .value_kind:     by_value
      - .offset:         12
        .size:           4
        .value_kind:     by_value
      - .offset:         16
        .size:           4
        .value_kind:     by_value
      - .offset:         20
        .size:           4
        .value_kind:     by_value
      - .offset:         24
        .size:           8
        .value_kind:     by_value
      - .address_space:  global
        .offset:         32
        .size:           8
        .value_kind:     global_buffer
      - .offset:         40
        .size:           8
        .value_kind:     by_value
      - .offset:         48
        .size:           8
        .value_kind:     by_value
      - .offset:         56
        .size:           8
        .value_kind:     by_value
      - .address_space:  global
        .offset:         64
        .size:           8
        .value_kind:     global_buffer
      - .offset:         72
        .size:           8
        .value_kind:     by_value
      - .offset:         80
        .size:           8
        .value_kind:     by_value
      - .offset:         88
        .size:           8
        .value_kind:     by_value
      - .offset:         96
        .size:           8
        .value_kind:     by_value
      - .address_space:  global
        .offset:         104
        .size:           8
        .value_kind:     global_buffer
      - .offset:         112
        .size:           8
        .value_kind:     by_value
      - .offset:         120
        .size:           8
        .value_kind:     by_value
      - .offset:         128
        .size:           8
        .value_kind:     by_value
      - .offset:         136
        .size:           4
        .value_kind:     by_value
    .group_segment_fixed_size: 16384
    .kernarg_segment_align: 8
    .kernarg_segment_size: 140
    .language:       OpenCL C
    .language_version:
      - 2
      - 0
    .max_flat_workgroup_size: 1024
    .name:           _ZL20rocblas_gbmvt_kernelILi32ELi32E24rocblas_internal_val_ptrIdEPKdPdEvb18rocblas_operation_iiiiT1_T2_lllS7_lllS6_T3_llli
    .private_segment_fixed_size: 0
    .sgpr_count:     42
    .sgpr_spill_count: 0
    .symbol:         _ZL20rocblas_gbmvt_kernelILi32ELi32E24rocblas_internal_val_ptrIdEPKdPdEvb18rocblas_operation_iiiiT1_T2_lllS7_lllS6_T3_llli.kd
    .uniform_work_group_size: 1
    .uses_dynamic_stack: false
    .vgpr_count:     30
    .vgpr_spill_count: 0
    .wavefront_size: 32
  - .args:
      - .offset:         0
        .size:           1
        .value_kind:     by_value
      - .offset:         4
        .size:           4
        .value_kind:     by_value
      - .offset:         8
        .size:           4
        .value_kind:     by_value
      - .offset:         12
        .size:           4
        .value_kind:     by_value
      - .offset:         16
        .size:           4
        .value_kind:     by_value
      - .offset:         20
        .size:           4
        .value_kind:     by_value
      - .offset:         24
        .size:           8
        .value_kind:     by_value
      - .address_space:  global
        .offset:         32
        .size:           8
        .value_kind:     global_buffer
      - .offset:         40
        .size:           8
        .value_kind:     by_value
      - .offset:         48
        .size:           8
        .value_kind:     by_value
      - .offset:         56
        .size:           8
        .value_kind:     by_value
      - .address_space:  global
        .offset:         64
        .size:           8
        .value_kind:     global_buffer
      - .offset:         72
        .size:           8
        .value_kind:     by_value
      - .offset:         80
        .size:           8
        .value_kind:     by_value
      - .offset:         88
        .size:           8
        .value_kind:     by_value
      - .offset:         96
        .size:           8
        .value_kind:     by_value
      - .address_space:  global
        .offset:         104
        .size:           8
        .value_kind:     global_buffer
      - .offset:         112
        .size:           8
        .value_kind:     by_value
      - .offset:         120
        .size:           8
        .value_kind:     by_value
      - .offset:         128
        .size:           8
        .value_kind:     by_value
      - .offset:         136
        .size:           4
        .value_kind:     by_value
    .group_segment_fixed_size: 16384
    .kernarg_segment_align: 8
    .kernarg_segment_size: 140
    .language:       OpenCL C
    .language_version:
      - 2
      - 0
    .max_flat_workgroup_size: 1024
    .name:           _ZL20rocblas_gbmvt_kernelILi64ELi16E24rocblas_internal_val_ptrIdEPKdPdEvb18rocblas_operation_iiiiT1_T2_lllS7_lllS6_T3_llli
    .private_segment_fixed_size: 0
    .sgpr_count:     42
    .sgpr_spill_count: 0
    .symbol:         _ZL20rocblas_gbmvt_kernelILi64ELi16E24rocblas_internal_val_ptrIdEPKdPdEvb18rocblas_operation_iiiiT1_T2_lllS7_lllS6_T3_llli.kd
    .uniform_work_group_size: 1
    .uses_dynamic_stack: false
    .vgpr_count:     30
    .vgpr_spill_count: 0
    .wavefront_size: 32
  - .args:
      - .offset:         0
        .size:           1
        .value_kind:     by_value
      - .offset:         4
        .size:           4
        .value_kind:     by_value
      - .offset:         8
        .size:           4
        .value_kind:     by_value
      - .offset:         12
        .size:           4
        .value_kind:     by_value
      - .offset:         16
        .size:           4
        .value_kind:     by_value
      - .offset:         24
        .size:           8
        .value_kind:     by_value
      - .address_space:  global
        .offset:         32
        .size:           8
        .value_kind:     global_buffer
      - .offset:         40
        .size:           8
        .value_kind:     by_value
      - .offset:         48
        .size:           8
        .value_kind:     by_value
      - .offset:         56
        .size:           8
        .value_kind:     by_value
      - .address_space:  global
        .offset:         64
        .size:           8
        .value_kind:     global_buffer
      - .offset:         72
        .size:           8
        .value_kind:     by_value
      - .offset:         80
        .size:           8
        .value_kind:     by_value
      - .offset:         88
        .size:           8
        .value_kind:     by_value
      - .offset:         96
        .size:           8
        .value_kind:     by_value
      - .address_space:  global
        .offset:         104
        .size:           8
        .value_kind:     global_buffer
      - .offset:         112
        .size:           8
        .value_kind:     by_value
      - .offset:         120
        .size:           8
        .value_kind:     by_value
      - .offset:         128
        .size:           8
        .value_kind:     by_value
      - .offset:         136
        .size:           4
        .value_kind:     by_value
    .group_segment_fixed_size: 0
    .kernarg_segment_align: 8
    .kernarg_segment_size: 140
    .language:       OpenCL C
    .language_version:
      - 2
      - 0
    .max_flat_workgroup_size: 1024
    .name:           _ZL20rocblas_gbmvn_kernelILi32ELi32E24rocblas_internal_val_ptrI19rocblas_complex_numIfEEPKS2_PS2_EvbiiiiT1_T2_lllS8_lllS7_T3_llli
    .private_segment_fixed_size: 0
    .sgpr_count:     45
    .sgpr_spill_count: 0
    .symbol:         _ZL20rocblas_gbmvn_kernelILi32ELi32E24rocblas_internal_val_ptrI19rocblas_complex_numIfEEPKS2_PS2_EvbiiiiT1_T2_lllS8_lllS7_T3_llli.kd
    .uniform_work_group_size: 1
    .uses_dynamic_stack: false
    .vgpr_count:     26
    .vgpr_spill_count: 0
    .wavefront_size: 32
  - .args:
      - .offset:         0
        .size:           1
        .value_kind:     by_value
      - .offset:         4
        .size:           4
        .value_kind:     by_value
      - .offset:         8
        .size:           4
        .value_kind:     by_value
      - .offset:         12
        .size:           4
        .value_kind:     by_value
      - .offset:         16
        .size:           4
        .value_kind:     by_value
      - .offset:         24
        .size:           8
        .value_kind:     by_value
      - .address_space:  global
        .offset:         32
        .size:           8
        .value_kind:     global_buffer
      - .offset:         40
        .size:           8
        .value_kind:     by_value
      - .offset:         48
        .size:           8
        .value_kind:     by_value
      - .offset:         56
        .size:           8
        .value_kind:     by_value
      - .address_space:  global
        .offset:         64
        .size:           8
        .value_kind:     global_buffer
      - .offset:         72
        .size:           8
        .value_kind:     by_value
      - .offset:         80
        .size:           8
        .value_kind:     by_value
      - .offset:         88
        .size:           8
        .value_kind:     by_value
      - .offset:         96
        .size:           8
        .value_kind:     by_value
      - .address_space:  global
        .offset:         104
        .size:           8
        .value_kind:     global_buffer
      - .offset:         112
        .size:           8
        .value_kind:     by_value
      - .offset:         120
        .size:           8
        .value_kind:     by_value
      - .offset:         128
        .size:           8
        .value_kind:     by_value
      - .offset:         136
        .size:           4
        .value_kind:     by_value
    .group_segment_fixed_size: 0
    .kernarg_segment_align: 8
    .kernarg_segment_size: 140
    .language:       OpenCL C
    .language_version:
      - 2
      - 0
    .max_flat_workgroup_size: 1024
    .name:           _ZL20rocblas_gbmvn_kernelILi64ELi16E24rocblas_internal_val_ptrI19rocblas_complex_numIfEEPKS2_PS2_EvbiiiiT1_T2_lllS8_lllS7_T3_llli
    .private_segment_fixed_size: 0
    .sgpr_count:     45
    .sgpr_spill_count: 0
    .symbol:         _ZL20rocblas_gbmvn_kernelILi64ELi16E24rocblas_internal_val_ptrI19rocblas_complex_numIfEEPKS2_PS2_EvbiiiiT1_T2_lllS8_lllS7_T3_llli.kd
    .uniform_work_group_size: 1
    .uses_dynamic_stack: false
    .vgpr_count:     27
    .vgpr_spill_count: 0
    .wavefront_size: 32
  - .args:
      - .offset:         0
        .size:           1
        .value_kind:     by_value
      - .offset:         4
        .size:           4
        .value_kind:     by_value
      - .offset:         8
        .size:           4
        .value_kind:     by_value
      - .offset:         12
        .size:           4
        .value_kind:     by_value
      - .offset:         16
        .size:           4
        .value_kind:     by_value
      - .offset:         20
        .size:           4
        .value_kind:     by_value
      - .offset:         24
        .size:           8
        .value_kind:     by_value
      - .address_space:  global
        .offset:         32
        .size:           8
        .value_kind:     global_buffer
      - .offset:         40
        .size:           8
        .value_kind:     by_value
      - .offset:         48
        .size:           8
        .value_kind:     by_value
      - .offset:         56
        .size:           8
        .value_kind:     by_value
      - .address_space:  global
        .offset:         64
        .size:           8
        .value_kind:     global_buffer
      - .offset:         72
        .size:           8
        .value_kind:     by_value
      - .offset:         80
        .size:           8
        .value_kind:     by_value
      - .offset:         88
        .size:           8
        .value_kind:     by_value
      - .offset:         96
        .size:           8
        .value_kind:     by_value
      - .address_space:  global
        .offset:         104
        .size:           8
        .value_kind:     global_buffer
      - .offset:         112
        .size:           8
        .value_kind:     by_value
      - .offset:         120
        .size:           8
        .value_kind:     by_value
      - .offset:         128
        .size:           8
        .value_kind:     by_value
      - .offset:         136
        .size:           4
        .value_kind:     by_value
    .group_segment_fixed_size: 0
    .kernarg_segment_align: 8
    .kernarg_segment_size: 140
    .language:       OpenCL C
    .language_version:
      - 2
      - 0
    .max_flat_workgroup_size: 1024
    .name:           _ZL20rocblas_gbmvt_kernelILi32ELi32E24rocblas_internal_val_ptrI19rocblas_complex_numIfEEPKS2_PS2_Evb18rocblas_operation_iiiiT1_T2_lllS9_lllS8_T3_llli
    .private_segment_fixed_size: 0
    .sgpr_count:     46
    .sgpr_spill_count: 0
    .symbol:         _ZL20rocblas_gbmvt_kernelILi32ELi32E24rocblas_internal_val_ptrI19rocblas_complex_numIfEEPKS2_PS2_Evb18rocblas_operation_iiiiT1_T2_lllS9_lllS8_T3_llli.kd
    .uniform_work_group_size: 1
    .uses_dynamic_stack: false
    .vgpr_count:     26
    .vgpr_spill_count: 0
    .wavefront_size: 32
  - .args:
      - .offset:         0
        .size:           1
        .value_kind:     by_value
      - .offset:         4
        .size:           4
        .value_kind:     by_value
      - .offset:         8
        .size:           4
        .value_kind:     by_value
      - .offset:         12
        .size:           4
        .value_kind:     by_value
      - .offset:         16
        .size:           4
        .value_kind:     by_value
      - .offset:         20
        .size:           4
        .value_kind:     by_value
      - .offset:         24
        .size:           8
        .value_kind:     by_value
      - .address_space:  global
        .offset:         32
        .size:           8
        .value_kind:     global_buffer
      - .offset:         40
        .size:           8
        .value_kind:     by_value
      - .offset:         48
        .size:           8
        .value_kind:     by_value
      - .offset:         56
        .size:           8
        .value_kind:     by_value
      - .address_space:  global
        .offset:         64
        .size:           8
        .value_kind:     global_buffer
      - .offset:         72
        .size:           8
        .value_kind:     by_value
      - .offset:         80
        .size:           8
        .value_kind:     by_value
      - .offset:         88
        .size:           8
        .value_kind:     by_value
      - .offset:         96
        .size:           8
        .value_kind:     by_value
      - .address_space:  global
        .offset:         104
        .size:           8
        .value_kind:     global_buffer
      - .offset:         112
        .size:           8
        .value_kind:     by_value
      - .offset:         120
        .size:           8
        .value_kind:     by_value
      - .offset:         128
        .size:           8
        .value_kind:     by_value
      - .offset:         136
        .size:           4
        .value_kind:     by_value
    .group_segment_fixed_size: 0
    .kernarg_segment_align: 8
    .kernarg_segment_size: 140
    .language:       OpenCL C
    .language_version:
      - 2
      - 0
    .max_flat_workgroup_size: 1024
    .name:           _ZL20rocblas_gbmvt_kernelILi64ELi16E24rocblas_internal_val_ptrI19rocblas_complex_numIfEEPKS2_PS2_Evb18rocblas_operation_iiiiT1_T2_lllS9_lllS8_T3_llli
    .private_segment_fixed_size: 0
    .sgpr_count:     46
    .sgpr_spill_count: 0
    .symbol:         _ZL20rocblas_gbmvt_kernelILi64ELi16E24rocblas_internal_val_ptrI19rocblas_complex_numIfEEPKS2_PS2_Evb18rocblas_operation_iiiiT1_T2_lllS9_lllS8_T3_llli.kd
    .uniform_work_group_size: 1
    .uses_dynamic_stack: false
    .vgpr_count:     26
    .vgpr_spill_count: 0
    .wavefront_size: 32
  - .args:
      - .offset:         0
        .size:           1
        .value_kind:     by_value
      - .offset:         4
        .size:           4
        .value_kind:     by_value
      - .offset:         8
        .size:           4
        .value_kind:     by_value
      - .offset:         12
        .size:           4
        .value_kind:     by_value
      - .offset:         16
        .size:           4
        .value_kind:     by_value
      - .offset:         24
        .size:           16
        .value_kind:     by_value
      - .address_space:  global
        .offset:         40
        .size:           8
        .value_kind:     global_buffer
      - .offset:         48
        .size:           8
        .value_kind:     by_value
      - .offset:         56
        .size:           8
        .value_kind:     by_value
      - .offset:         64
        .size:           8
        .value_kind:     by_value
      - .address_space:  global
        .offset:         72
        .size:           8
        .value_kind:     global_buffer
      - .offset:         80
        .size:           8
        .value_kind:     by_value
      - .offset:         88
        .size:           8
        .value_kind:     by_value
      - .offset:         96
        .size:           8
        .value_kind:     by_value
      - .offset:         104
        .size:           16
        .value_kind:     by_value
      - .address_space:  global
        .offset:         120
        .size:           8
        .value_kind:     global_buffer
      - .offset:         128
        .size:           8
        .value_kind:     by_value
      - .offset:         136
        .size:           8
        .value_kind:     by_value
      - .offset:         144
        .size:           8
        .value_kind:     by_value
      - .offset:         152
        .size:           4
        .value_kind:     by_value
    .group_segment_fixed_size: 0
    .kernarg_segment_align: 8
    .kernarg_segment_size: 156
    .language:       OpenCL C
    .language_version:
      - 2
      - 0
    .max_flat_workgroup_size: 1024
    .name:           _ZL20rocblas_gbmvn_kernelILi32ELi32E24rocblas_internal_val_ptrI19rocblas_complex_numIdEEPKS2_PS2_EvbiiiiT1_T2_lllS8_lllS7_T3_llli
    .private_segment_fixed_size: 0
    .sgpr_count:     54
    .sgpr_spill_count: 0
    .symbol:         _ZL20rocblas_gbmvn_kernelILi32ELi32E24rocblas_internal_val_ptrI19rocblas_complex_numIdEEPKS2_PS2_EvbiiiiT1_T2_lllS8_lllS7_T3_llli.kd
    .uniform_work_group_size: 1
    .uses_dynamic_stack: false
    .vgpr_count:     38
    .vgpr_spill_count: 0
    .wavefront_size: 32
  - .args:
      - .offset:         0
        .size:           1
        .value_kind:     by_value
      - .offset:         4
        .size:           4
        .value_kind:     by_value
      - .offset:         8
        .size:           4
        .value_kind:     by_value
      - .offset:         12
        .size:           4
        .value_kind:     by_value
      - .offset:         16
        .size:           4
        .value_kind:     by_value
      - .offset:         24
        .size:           16
        .value_kind:     by_value
      - .address_space:  global
        .offset:         40
        .size:           8
        .value_kind:     global_buffer
      - .offset:         48
        .size:           8
        .value_kind:     by_value
      - .offset:         56
        .size:           8
        .value_kind:     by_value
      - .offset:         64
        .size:           8
        .value_kind:     by_value
      - .address_space:  global
        .offset:         72
        .size:           8
        .value_kind:     global_buffer
      - .offset:         80
        .size:           8
        .value_kind:     by_value
      - .offset:         88
        .size:           8
        .value_kind:     by_value
      - .offset:         96
        .size:           8
        .value_kind:     by_value
      - .offset:         104
        .size:           16
        .value_kind:     by_value
      - .address_space:  global
        .offset:         120
        .size:           8
        .value_kind:     global_buffer
      - .offset:         128
        .size:           8
        .value_kind:     by_value
      - .offset:         136
        .size:           8
        .value_kind:     by_value
      - .offset:         144
        .size:           8
        .value_kind:     by_value
      - .offset:         152
        .size:           4
        .value_kind:     by_value
    .group_segment_fixed_size: 0
    .kernarg_segment_align: 8
    .kernarg_segment_size: 156
    .language:       OpenCL C
    .language_version:
      - 2
      - 0
    .max_flat_workgroup_size: 1024
    .name:           _ZL20rocblas_gbmvn_kernelILi64ELi16E24rocblas_internal_val_ptrI19rocblas_complex_numIdEEPKS2_PS2_EvbiiiiT1_T2_lllS8_lllS7_T3_llli
    .private_segment_fixed_size: 0
    .sgpr_count:     54
    .sgpr_spill_count: 0
    .symbol:         _ZL20rocblas_gbmvn_kernelILi64ELi16E24rocblas_internal_val_ptrI19rocblas_complex_numIdEEPKS2_PS2_EvbiiiiT1_T2_lllS8_lllS7_T3_llli.kd
    .uniform_work_group_size: 1
    .uses_dynamic_stack: false
    .vgpr_count:     38
    .vgpr_spill_count: 0
    .wavefront_size: 32
  - .args:
      - .offset:         0
        .size:           1
        .value_kind:     by_value
      - .offset:         4
        .size:           4
        .value_kind:     by_value
      - .offset:         8
        .size:           4
        .value_kind:     by_value
      - .offset:         12
        .size:           4
        .value_kind:     by_value
      - .offset:         16
        .size:           4
        .value_kind:     by_value
      - .offset:         20
        .size:           4
        .value_kind:     by_value
      - .offset:         24
        .size:           16
        .value_kind:     by_value
      - .address_space:  global
        .offset:         40
        .size:           8
        .value_kind:     global_buffer
      - .offset:         48
        .size:           8
        .value_kind:     by_value
      - .offset:         56
        .size:           8
        .value_kind:     by_value
      - .offset:         64
        .size:           8
        .value_kind:     by_value
      - .address_space:  global
        .offset:         72
        .size:           8
        .value_kind:     global_buffer
      - .offset:         80
        .size:           8
        .value_kind:     by_value
      - .offset:         88
        .size:           8
        .value_kind:     by_value
      - .offset:         96
        .size:           8
        .value_kind:     by_value
      - .offset:         104
        .size:           16
        .value_kind:     by_value
      - .address_space:  global
        .offset:         120
        .size:           8
        .value_kind:     global_buffer
      - .offset:         128
        .size:           8
        .value_kind:     by_value
      - .offset:         136
        .size:           8
        .value_kind:     by_value
      - .offset:         144
        .size:           8
        .value_kind:     by_value
      - .offset:         152
        .size:           4
        .value_kind:     by_value
    .group_segment_fixed_size: 0
    .kernarg_segment_align: 8
    .kernarg_segment_size: 156
    .language:       OpenCL C
    .language_version:
      - 2
      - 0
    .max_flat_workgroup_size: 1024
    .name:           _ZL20rocblas_gbmvt_kernelILi32ELi32E24rocblas_internal_val_ptrI19rocblas_complex_numIdEEPKS2_PS2_Evb18rocblas_operation_iiiiT1_T2_lllS9_lllS8_T3_llli
    .private_segment_fixed_size: 0
    .sgpr_count:     54
    .sgpr_spill_count: 0
    .symbol:         _ZL20rocblas_gbmvt_kernelILi32ELi32E24rocblas_internal_val_ptrI19rocblas_complex_numIdEEPKS2_PS2_Evb18rocblas_operation_iiiiT1_T2_lllS9_lllS8_T3_llli.kd
    .uniform_work_group_size: 1
    .uses_dynamic_stack: false
    .vgpr_count:     40
    .vgpr_spill_count: 0
    .wavefront_size: 32
  - .args:
      - .offset:         0
        .size:           1
        .value_kind:     by_value
      - .offset:         4
        .size:           4
        .value_kind:     by_value
      - .offset:         8
        .size:           4
        .value_kind:     by_value
      - .offset:         12
        .size:           4
        .value_kind:     by_value
      - .offset:         16
        .size:           4
        .value_kind:     by_value
      - .offset:         20
        .size:           4
        .value_kind:     by_value
      - .offset:         24
        .size:           16
        .value_kind:     by_value
      - .address_space:  global
        .offset:         40
        .size:           8
        .value_kind:     global_buffer
      - .offset:         48
        .size:           8
        .value_kind:     by_value
      - .offset:         56
        .size:           8
        .value_kind:     by_value
      - .offset:         64
        .size:           8
        .value_kind:     by_value
      - .address_space:  global
        .offset:         72
        .size:           8
        .value_kind:     global_buffer
      - .offset:         80
        .size:           8
        .value_kind:     by_value
      - .offset:         88
        .size:           8
        .value_kind:     by_value
      - .offset:         96
        .size:           8
        .value_kind:     by_value
      - .offset:         104
        .size:           16
        .value_kind:     by_value
      - .address_space:  global
        .offset:         120
        .size:           8
        .value_kind:     global_buffer
      - .offset:         128
        .size:           8
        .value_kind:     by_value
      - .offset:         136
        .size:           8
        .value_kind:     by_value
      - .offset:         144
        .size:           8
        .value_kind:     by_value
      - .offset:         152
        .size:           4
        .value_kind:     by_value
    .group_segment_fixed_size: 0
    .kernarg_segment_align: 8
    .kernarg_segment_size: 156
    .language:       OpenCL C
    .language_version:
      - 2
      - 0
    .max_flat_workgroup_size: 1024
    .name:           _ZL20rocblas_gbmvt_kernelILi64ELi16E24rocblas_internal_val_ptrI19rocblas_complex_numIdEEPKS2_PS2_Evb18rocblas_operation_iiiiT1_T2_lllS9_lllS8_T3_llli
    .private_segment_fixed_size: 0
    .sgpr_count:     54
    .sgpr_spill_count: 0
    .symbol:         _ZL20rocblas_gbmvt_kernelILi64ELi16E24rocblas_internal_val_ptrI19rocblas_complex_numIdEEPKS2_PS2_Evb18rocblas_operation_iiiiT1_T2_lllS9_lllS8_T3_llli.kd
    .uniform_work_group_size: 1
    .uses_dynamic_stack: false
    .vgpr_count:     40
    .vgpr_spill_count: 0
    .wavefront_size: 32
  - .args:
      - .offset:         0
        .size:           1
        .value_kind:     by_value
      - .offset:         4
        .size:           4
        .value_kind:     by_value
      - .offset:         8
        .size:           4
        .value_kind:     by_value
      - .offset:         12
        .size:           4
        .value_kind:     by_value
      - .offset:         16
        .size:           4
        .value_kind:     by_value
      - .offset:         24
        .size:           8
        .value_kind:     by_value
      - .address_space:  global
        .offset:         32
        .size:           8
        .value_kind:     global_buffer
      - .offset:         40
        .size:           8
        .value_kind:     by_value
      - .offset:         48
        .size:           8
        .value_kind:     by_value
      - .offset:         56
        .size:           8
        .value_kind:     by_value
      - .address_space:  global
        .offset:         64
        .size:           8
        .value_kind:     global_buffer
      - .offset:         72
        .size:           8
        .value_kind:     by_value
      - .offset:         80
        .size:           8
        .value_kind:     by_value
      - .offset:         88
        .size:           8
        .value_kind:     by_value
      - .offset:         96
        .size:           8
        .value_kind:     by_value
      - .address_space:  global
        .offset:         104
        .size:           8
        .value_kind:     global_buffer
      - .offset:         112
        .size:           8
        .value_kind:     by_value
      - .offset:         120
        .size:           8
        .value_kind:     by_value
      - .offset:         128
        .size:           8
        .value_kind:     by_value
      - .offset:         136
        .size:           4
        .value_kind:     by_value
    .group_segment_fixed_size: 16384
    .kernarg_segment_align: 8
    .kernarg_segment_size: 140
    .language:       OpenCL C
    .language_version:
      - 2
      - 0
    .max_flat_workgroup_size: 1024
    .name:           _ZL20rocblas_gbmvn_kernelILi32ELi32E24rocblas_internal_val_ptrIfEPKPKfPKPfEvbiiiiT1_T2_lllSA_lllS9_T3_llli
    .private_segment_fixed_size: 0
    .sgpr_count:     36
    .sgpr_spill_count: 0
    .symbol:         _ZL20rocblas_gbmvn_kernelILi32ELi32E24rocblas_internal_val_ptrIfEPKPKfPKPfEvbiiiiT1_T2_lllSA_lllS9_T3_llli.kd
    .uniform_work_group_size: 1
    .uses_dynamic_stack: false
    .vgpr_count:     25
    .vgpr_spill_count: 0
    .wavefront_size: 32
  - .args:
      - .offset:         0
        .size:           1
        .value_kind:     by_value
      - .offset:         4
        .size:           4
        .value_kind:     by_value
      - .offset:         8
        .size:           4
        .value_kind:     by_value
      - .offset:         12
        .size:           4
        .value_kind:     by_value
      - .offset:         16
        .size:           4
        .value_kind:     by_value
      - .offset:         24
        .size:           8
        .value_kind:     by_value
      - .address_space:  global
        .offset:         32
        .size:           8
        .value_kind:     global_buffer
      - .offset:         40
        .size:           8
        .value_kind:     by_value
      - .offset:         48
        .size:           8
        .value_kind:     by_value
      - .offset:         56
        .size:           8
        .value_kind:     by_value
      - .address_space:  global
        .offset:         64
        .size:           8
        .value_kind:     global_buffer
      - .offset:         72
        .size:           8
        .value_kind:     by_value
      - .offset:         80
        .size:           8
        .value_kind:     by_value
      - .offset:         88
        .size:           8
        .value_kind:     by_value
      - .offset:         96
        .size:           8
        .value_kind:     by_value
      - .address_space:  global
        .offset:         104
        .size:           8
        .value_kind:     global_buffer
      - .offset:         112
        .size:           8
        .value_kind:     by_value
      - .offset:         120
        .size:           8
        .value_kind:     by_value
      - .offset:         128
        .size:           8
        .value_kind:     by_value
      - .offset:         136
        .size:           4
        .value_kind:     by_value
    .group_segment_fixed_size: 16384
    .kernarg_segment_align: 8
    .kernarg_segment_size: 140
    .language:       OpenCL C
    .language_version:
      - 2
      - 0
    .max_flat_workgroup_size: 1024
    .name:           _ZL20rocblas_gbmvn_kernelILi64ELi16E24rocblas_internal_val_ptrIfEPKPKfPKPfEvbiiiiT1_T2_lllSA_lllS9_T3_llli
    .private_segment_fixed_size: 0
    .sgpr_count:     36
    .sgpr_spill_count: 0
    .symbol:         _ZL20rocblas_gbmvn_kernelILi64ELi16E24rocblas_internal_val_ptrIfEPKPKfPKPfEvbiiiiT1_T2_lllSA_lllS9_T3_llli.kd
    .uniform_work_group_size: 1
    .uses_dynamic_stack: false
    .vgpr_count:     26
    .vgpr_spill_count: 0
    .wavefront_size: 32
  - .args:
      - .offset:         0
        .size:           1
        .value_kind:     by_value
      - .offset:         4
        .size:           4
        .value_kind:     by_value
      - .offset:         8
        .size:           4
        .value_kind:     by_value
      - .offset:         12
        .size:           4
        .value_kind:     by_value
      - .offset:         16
        .size:           4
        .value_kind:     by_value
      - .offset:         20
        .size:           4
        .value_kind:     by_value
      - .offset:         24
        .size:           8
        .value_kind:     by_value
      - .address_space:  global
        .offset:         32
        .size:           8
        .value_kind:     global_buffer
      - .offset:         40
        .size:           8
        .value_kind:     by_value
      - .offset:         48
        .size:           8
        .value_kind:     by_value
      - .offset:         56
        .size:           8
        .value_kind:     by_value
      - .address_space:  global
        .offset:         64
        .size:           8
        .value_kind:     global_buffer
      - .offset:         72
        .size:           8
        .value_kind:     by_value
      - .offset:         80
        .size:           8
        .value_kind:     by_value
      - .offset:         88
        .size:           8
        .value_kind:     by_value
      - .offset:         96
        .size:           8
        .value_kind:     by_value
      - .address_space:  global
        .offset:         104
        .size:           8
        .value_kind:     global_buffer
      - .offset:         112
        .size:           8
        .value_kind:     by_value
      - .offset:         120
        .size:           8
        .value_kind:     by_value
      - .offset:         128
        .size:           8
        .value_kind:     by_value
      - .offset:         136
        .size:           4
        .value_kind:     by_value
    .group_segment_fixed_size: 16384
    .kernarg_segment_align: 8
    .kernarg_segment_size: 140
    .language:       OpenCL C
    .language_version:
      - 2
      - 0
    .max_flat_workgroup_size: 1024
    .name:           _ZL20rocblas_gbmvt_kernelILi32ELi32E24rocblas_internal_val_ptrIfEPKPKfPKPfEvb18rocblas_operation_iiiiT1_T2_lllSB_lllSA_T3_llli
    .private_segment_fixed_size: 0
    .sgpr_count:     34
    .sgpr_spill_count: 0
    .symbol:         _ZL20rocblas_gbmvt_kernelILi32ELi32E24rocblas_internal_val_ptrIfEPKPKfPKPfEvb18rocblas_operation_iiiiT1_T2_lllSB_lllSA_T3_llli.kd
    .uniform_work_group_size: 1
    .uses_dynamic_stack: false
    .vgpr_count:     27
    .vgpr_spill_count: 0
    .wavefront_size: 32
  - .args:
      - .offset:         0
        .size:           1
        .value_kind:     by_value
      - .offset:         4
        .size:           4
        .value_kind:     by_value
      - .offset:         8
        .size:           4
        .value_kind:     by_value
      - .offset:         12
        .size:           4
        .value_kind:     by_value
      - .offset:         16
        .size:           4
        .value_kind:     by_value
      - .offset:         20
        .size:           4
        .value_kind:     by_value
      - .offset:         24
        .size:           8
        .value_kind:     by_value
      - .address_space:  global
        .offset:         32
        .size:           8
        .value_kind:     global_buffer
      - .offset:         40
        .size:           8
        .value_kind:     by_value
      - .offset:         48
        .size:           8
        .value_kind:     by_value
      - .offset:         56
        .size:           8
        .value_kind:     by_value
      - .address_space:  global
        .offset:         64
        .size:           8
        .value_kind:     global_buffer
      - .offset:         72
        .size:           8
        .value_kind:     by_value
      - .offset:         80
        .size:           8
        .value_kind:     by_value
      - .offset:         88
        .size:           8
        .value_kind:     by_value
      - .offset:         96
        .size:           8
        .value_kind:     by_value
      - .address_space:  global
        .offset:         104
        .size:           8
        .value_kind:     global_buffer
      - .offset:         112
        .size:           8
        .value_kind:     by_value
      - .offset:         120
        .size:           8
        .value_kind:     by_value
      - .offset:         128
        .size:           8
        .value_kind:     by_value
      - .offset:         136
        .size:           4
        .value_kind:     by_value
    .group_segment_fixed_size: 16384
    .kernarg_segment_align: 8
    .kernarg_segment_size: 140
    .language:       OpenCL C
    .language_version:
      - 2
      - 0
    .max_flat_workgroup_size: 1024
    .name:           _ZL20rocblas_gbmvt_kernelILi64ELi16E24rocblas_internal_val_ptrIfEPKPKfPKPfEvb18rocblas_operation_iiiiT1_T2_lllSB_lllSA_T3_llli
    .private_segment_fixed_size: 0
    .sgpr_count:     34
    .sgpr_spill_count: 0
    .symbol:         _ZL20rocblas_gbmvt_kernelILi64ELi16E24rocblas_internal_val_ptrIfEPKPKfPKPfEvb18rocblas_operation_iiiiT1_T2_lllSB_lllSA_T3_llli.kd
    .uniform_work_group_size: 1
    .uses_dynamic_stack: false
    .vgpr_count:     28
    .vgpr_spill_count: 0
    .wavefront_size: 32
amdhsa.target:   amdgcn-amd-amdhsa--gfx1250
amdhsa.version:
  - 1
  - 2
...

	.end_amdgpu_metadata
